;; amdgpu-corpus repo=ROCm/rocFFT kind=compiled arch=gfx906 opt=O3
	.text
	.amdgcn_target "amdgcn-amd-amdhsa--gfx906"
	.amdhsa_code_object_version 6
	.protected	fft_rtc_fwd_len1666_factors_17_2_7_7_wgs_119_tpt_119_halfLds_half_ip_CI_sbrr_dirReg ; -- Begin function fft_rtc_fwd_len1666_factors_17_2_7_7_wgs_119_tpt_119_halfLds_half_ip_CI_sbrr_dirReg
	.globl	fft_rtc_fwd_len1666_factors_17_2_7_7_wgs_119_tpt_119_halfLds_half_ip_CI_sbrr_dirReg
	.p2align	8
	.type	fft_rtc_fwd_len1666_factors_17_2_7_7_wgs_119_tpt_119_halfLds_half_ip_CI_sbrr_dirReg,@function
fft_rtc_fwd_len1666_factors_17_2_7_7_wgs_119_tpt_119_halfLds_half_ip_CI_sbrr_dirReg: ; @fft_rtc_fwd_len1666_factors_17_2_7_7_wgs_119_tpt_119_halfLds_half_ip_CI_sbrr_dirReg
; %bb.0:
	s_load_dwordx2 s[2:3], s[4:5], 0x18
	s_load_dwordx4 s[8:11], s[4:5], 0x0
	s_load_dwordx2 s[14:15], s[4:5], 0x50
	v_mul_u32_u24_e32 v1, 0x227, v0
	v_add_u32_sdwa v5, s6, v1 dst_sel:DWORD dst_unused:UNUSED_PAD src0_sel:DWORD src1_sel:WORD_1
	s_waitcnt lgkmcnt(0)
	s_load_dwordx2 s[12:13], s[2:3], 0x0
	v_cmp_lt_u64_e64 s[0:1], s[10:11], 2
	v_mov_b32_e32 v3, 0
	v_mov_b32_e32 v1, 0
	;; [unrolled: 1-line block ×3, first 2 shown]
	s_and_b64 vcc, exec, s[0:1]
	v_mov_b32_e32 v2, 0
	s_cbranch_vccnz .LBB0_8
; %bb.1:
	s_load_dwordx2 s[0:1], s[4:5], 0x10
	s_add_u32 s6, s2, 8
	s_addc_u32 s7, s3, 0
	v_mov_b32_e32 v1, 0
	v_mov_b32_e32 v2, 0
	s_waitcnt lgkmcnt(0)
	s_add_u32 s16, s0, 8
	s_addc_u32 s17, s1, 0
	s_mov_b64 s[18:19], 1
.LBB0_2:                                ; =>This Inner Loop Header: Depth=1
	s_load_dwordx2 s[20:21], s[16:17], 0x0
                                        ; implicit-def: $vgpr7_vgpr8
	s_waitcnt lgkmcnt(0)
	v_or_b32_e32 v4, s21, v6
	v_cmp_ne_u64_e32 vcc, 0, v[3:4]
	s_and_saveexec_b64 s[0:1], vcc
	s_xor_b64 s[22:23], exec, s[0:1]
	s_cbranch_execz .LBB0_4
; %bb.3:                                ;   in Loop: Header=BB0_2 Depth=1
	v_cvt_f32_u32_e32 v4, s20
	v_cvt_f32_u32_e32 v7, s21
	s_sub_u32 s0, 0, s20
	s_subb_u32 s1, 0, s21
	v_mac_f32_e32 v4, 0x4f800000, v7
	v_rcp_f32_e32 v4, v4
	v_mul_f32_e32 v4, 0x5f7ffffc, v4
	v_mul_f32_e32 v7, 0x2f800000, v4
	v_trunc_f32_e32 v7, v7
	v_mac_f32_e32 v4, 0xcf800000, v7
	v_cvt_u32_f32_e32 v7, v7
	v_cvt_u32_f32_e32 v4, v4
	v_mul_lo_u32 v8, s0, v7
	v_mul_hi_u32 v9, s0, v4
	v_mul_lo_u32 v11, s1, v4
	v_mul_lo_u32 v10, s0, v4
	v_add_u32_e32 v8, v9, v8
	v_add_u32_e32 v8, v8, v11
	v_mul_hi_u32 v9, v4, v10
	v_mul_lo_u32 v11, v4, v8
	v_mul_hi_u32 v13, v4, v8
	v_mul_hi_u32 v12, v7, v10
	v_mul_lo_u32 v10, v7, v10
	v_mul_hi_u32 v14, v7, v8
	v_add_co_u32_e32 v9, vcc, v9, v11
	v_addc_co_u32_e32 v11, vcc, 0, v13, vcc
	v_mul_lo_u32 v8, v7, v8
	v_add_co_u32_e32 v9, vcc, v9, v10
	v_addc_co_u32_e32 v9, vcc, v11, v12, vcc
	v_addc_co_u32_e32 v10, vcc, 0, v14, vcc
	v_add_co_u32_e32 v8, vcc, v9, v8
	v_addc_co_u32_e32 v9, vcc, 0, v10, vcc
	v_add_co_u32_e32 v4, vcc, v4, v8
	v_addc_co_u32_e32 v7, vcc, v7, v9, vcc
	v_mul_lo_u32 v8, s0, v7
	v_mul_hi_u32 v9, s0, v4
	v_mul_lo_u32 v10, s1, v4
	v_mul_lo_u32 v11, s0, v4
	v_add_u32_e32 v8, v9, v8
	v_add_u32_e32 v8, v8, v10
	v_mul_lo_u32 v12, v4, v8
	v_mul_hi_u32 v13, v4, v11
	v_mul_hi_u32 v14, v4, v8
	;; [unrolled: 1-line block ×3, first 2 shown]
	v_mul_lo_u32 v11, v7, v11
	v_mul_hi_u32 v9, v7, v8
	v_add_co_u32_e32 v12, vcc, v13, v12
	v_addc_co_u32_e32 v13, vcc, 0, v14, vcc
	v_mul_lo_u32 v8, v7, v8
	v_add_co_u32_e32 v11, vcc, v12, v11
	v_addc_co_u32_e32 v10, vcc, v13, v10, vcc
	v_addc_co_u32_e32 v9, vcc, 0, v9, vcc
	v_add_co_u32_e32 v8, vcc, v10, v8
	v_addc_co_u32_e32 v9, vcc, 0, v9, vcc
	v_add_co_u32_e32 v4, vcc, v4, v8
	v_addc_co_u32_e32 v9, vcc, v7, v9, vcc
	v_mad_u64_u32 v[7:8], s[0:1], v5, v9, 0
	v_mul_hi_u32 v10, v5, v4
	v_add_co_u32_e32 v11, vcc, v10, v7
	v_addc_co_u32_e32 v12, vcc, 0, v8, vcc
	v_mad_u64_u32 v[7:8], s[0:1], v6, v4, 0
	v_mad_u64_u32 v[9:10], s[0:1], v6, v9, 0
	v_add_co_u32_e32 v4, vcc, v11, v7
	v_addc_co_u32_e32 v4, vcc, v12, v8, vcc
	v_addc_co_u32_e32 v7, vcc, 0, v10, vcc
	v_add_co_u32_e32 v4, vcc, v4, v9
	v_addc_co_u32_e32 v9, vcc, 0, v7, vcc
	v_mul_lo_u32 v10, s21, v4
	v_mul_lo_u32 v11, s20, v9
	v_mad_u64_u32 v[7:8], s[0:1], s20, v4, 0
	v_add3_u32 v8, v8, v11, v10
	v_sub_u32_e32 v10, v6, v8
	v_mov_b32_e32 v11, s21
	v_sub_co_u32_e32 v7, vcc, v5, v7
	v_subb_co_u32_e64 v10, s[0:1], v10, v11, vcc
	v_subrev_co_u32_e64 v11, s[0:1], s20, v7
	v_subbrev_co_u32_e64 v10, s[0:1], 0, v10, s[0:1]
	v_cmp_le_u32_e64 s[0:1], s21, v10
	v_cndmask_b32_e64 v12, 0, -1, s[0:1]
	v_cmp_le_u32_e64 s[0:1], s20, v11
	v_cndmask_b32_e64 v11, 0, -1, s[0:1]
	v_cmp_eq_u32_e64 s[0:1], s21, v10
	v_cndmask_b32_e64 v10, v12, v11, s[0:1]
	v_add_co_u32_e64 v11, s[0:1], 2, v4
	v_addc_co_u32_e64 v12, s[0:1], 0, v9, s[0:1]
	v_add_co_u32_e64 v13, s[0:1], 1, v4
	v_addc_co_u32_e64 v14, s[0:1], 0, v9, s[0:1]
	v_subb_co_u32_e32 v8, vcc, v6, v8, vcc
	v_cmp_ne_u32_e64 s[0:1], 0, v10
	v_cmp_le_u32_e32 vcc, s21, v8
	v_cndmask_b32_e64 v10, v14, v12, s[0:1]
	v_cndmask_b32_e64 v12, 0, -1, vcc
	v_cmp_le_u32_e32 vcc, s20, v7
	v_cndmask_b32_e64 v7, 0, -1, vcc
	v_cmp_eq_u32_e32 vcc, s21, v8
	v_cndmask_b32_e32 v7, v12, v7, vcc
	v_cmp_ne_u32_e32 vcc, 0, v7
	v_cndmask_b32_e64 v7, v13, v11, s[0:1]
	v_cndmask_b32_e32 v8, v9, v10, vcc
	v_cndmask_b32_e32 v7, v4, v7, vcc
.LBB0_4:                                ;   in Loop: Header=BB0_2 Depth=1
	s_andn2_saveexec_b64 s[0:1], s[22:23]
	s_cbranch_execz .LBB0_6
; %bb.5:                                ;   in Loop: Header=BB0_2 Depth=1
	v_cvt_f32_u32_e32 v4, s20
	s_sub_i32 s22, 0, s20
	v_rcp_iflag_f32_e32 v4, v4
	v_mul_f32_e32 v4, 0x4f7ffffe, v4
	v_cvt_u32_f32_e32 v4, v4
	v_mul_lo_u32 v7, s22, v4
	v_mul_hi_u32 v7, v4, v7
	v_add_u32_e32 v4, v4, v7
	v_mul_hi_u32 v4, v5, v4
	v_mul_lo_u32 v7, v4, s20
	v_add_u32_e32 v8, 1, v4
	v_sub_u32_e32 v7, v5, v7
	v_subrev_u32_e32 v9, s20, v7
	v_cmp_le_u32_e32 vcc, s20, v7
	v_cndmask_b32_e32 v7, v7, v9, vcc
	v_cndmask_b32_e32 v4, v4, v8, vcc
	v_add_u32_e32 v8, 1, v4
	v_cmp_le_u32_e32 vcc, s20, v7
	v_cndmask_b32_e32 v7, v4, v8, vcc
	v_mov_b32_e32 v8, v3
.LBB0_6:                                ;   in Loop: Header=BB0_2 Depth=1
	s_or_b64 exec, exec, s[0:1]
	v_mul_lo_u32 v4, v8, s20
	v_mul_lo_u32 v11, v7, s21
	v_mad_u64_u32 v[9:10], s[0:1], v7, s20, 0
	s_load_dwordx2 s[0:1], s[6:7], 0x0
	s_add_u32 s18, s18, 1
	v_add3_u32 v4, v10, v11, v4
	v_sub_co_u32_e32 v5, vcc, v5, v9
	v_subb_co_u32_e32 v4, vcc, v6, v4, vcc
	s_waitcnt lgkmcnt(0)
	v_mul_lo_u32 v4, s0, v4
	v_mul_lo_u32 v6, s1, v5
	v_mad_u64_u32 v[1:2], s[0:1], s0, v5, v[1:2]
	s_addc_u32 s19, s19, 0
	s_add_u32 s6, s6, 8
	v_add3_u32 v2, v6, v2, v4
	v_mov_b32_e32 v4, s10
	v_mov_b32_e32 v5, s11
	s_addc_u32 s7, s7, 0
	v_cmp_ge_u64_e32 vcc, s[18:19], v[4:5]
	s_add_u32 s16, s16, 8
	s_addc_u32 s17, s17, 0
	s_cbranch_vccnz .LBB0_9
; %bb.7:                                ;   in Loop: Header=BB0_2 Depth=1
	v_mov_b32_e32 v5, v7
	v_mov_b32_e32 v6, v8
	s_branch .LBB0_2
.LBB0_8:
	v_mov_b32_e32 v8, v6
	v_mov_b32_e32 v7, v5
.LBB0_9:
	s_lshl_b64 s[0:1], s[10:11], 3
	s_add_u32 s0, s2, s0
	s_addc_u32 s1, s3, s1
	s_load_dwordx2 s[2:3], s[0:1], 0x0
	s_load_dwordx2 s[6:7], s[4:5], 0x20
                                        ; implicit-def: $vgpr18
                                        ; implicit-def: $vgpr19
                                        ; implicit-def: $vgpr20
                                        ; implicit-def: $vgpr21
                                        ; implicit-def: $vgpr22
                                        ; implicit-def: $vgpr9
                                        ; implicit-def: $vgpr23
                                        ; implicit-def: $vgpr10
                                        ; implicit-def: $vgpr24
                                        ; implicit-def: $vgpr11
                                        ; implicit-def: $vgpr25
                                        ; implicit-def: $vgpr12
                                        ; implicit-def: $vgpr28
                                        ; implicit-def: $vgpr13
                                        ; implicit-def: $vgpr29
                                        ; implicit-def: $vgpr14
                                        ; implicit-def: $vgpr30
                                        ; implicit-def: $vgpr15
                                        ; implicit-def: $vgpr32
                                        ; implicit-def: $vgpr16
                                        ; implicit-def: $vgpr33
                                        ; implicit-def: $vgpr17
                                        ; implicit-def: $vgpr36
                                        ; implicit-def: $vgpr31
                                        ; implicit-def: $vgpr35
                                        ; implicit-def: $vgpr27
                                        ; implicit-def: $vgpr34
                                        ; implicit-def: $vgpr26
	s_waitcnt lgkmcnt(0)
	v_mad_u64_u32 v[4:5], s[0:1], s2, v7, v[1:2]
	s_mov_b32 s0, 0x226b903
	v_mul_hi_u32 v1, v0, s0
	v_mul_lo_u32 v3, s2, v8
	v_mul_lo_u32 v6, s3, v7
	v_cmp_gt_u64_e32 vcc, s[6:7], v[7:8]
	v_mul_u32_u24_e32 v1, 0x77, v1
	v_sub_u32_e32 v2, v0, v1
	v_add3_u32 v5, v6, v5, v3
	s_movk_i32 s0, 0x62
	v_cmp_gt_u32_e64 s[0:1], s0, v2
	v_lshlrev_b64 v[0:1], 2, v[4:5]
	s_and_b64 s[2:3], vcc, s[0:1]
	v_mov_b32_e32 v3, 0
	v_mov_b32_e32 v4, 0
                                        ; implicit-def: $vgpr5
                                        ; implicit-def: $vgpr6
                                        ; implicit-def: $vgpr7
                                        ; implicit-def: $vgpr8
	s_and_saveexec_b64 s[4:5], s[2:3]
	s_cbranch_execz .LBB0_11
; %bb.10:
	v_mad_u64_u32 v[3:4], s[2:3], s12, v2, 0
	v_add_u32_e32 v8, 0x62, v2
	v_mov_b32_e32 v7, s15
	v_mad_u64_u32 v[4:5], s[2:3], s13, v2, v[4:5]
	v_mad_u64_u32 v[5:6], s[2:3], s12, v8, 0
	v_add_co_u32_e64 v40, s[2:3], s14, v0
	v_addc_co_u32_e64 v41, s[2:3], v7, v1, s[2:3]
	v_mad_u64_u32 v[6:7], s[2:3], s13, v8, v[6:7]
	v_add_u32_e32 v9, 0xc4, v2
	v_mad_u64_u32 v[7:8], s[2:3], s12, v9, 0
	v_lshlrev_b64 v[3:4], 2, v[3:4]
	v_add_u32_e32 v32, 0x372, v2
	v_add_co_u32_e64 v12, s[2:3], v40, v3
	v_addc_co_u32_e64 v13, s[2:3], v41, v4, s[2:3]
	v_lshlrev_b64 v[3:4], 2, v[5:6]
	v_mov_b32_e32 v5, v8
	v_mad_u64_u32 v[5:6], s[2:3], s13, v9, v[5:6]
	v_add_u32_e32 v6, 0x126, v2
	v_mad_u64_u32 v[9:10], s[2:3], s12, v6, 0
	v_add_co_u32_e64 v14, s[2:3], v40, v3
	v_mov_b32_e32 v8, v5
	v_mov_b32_e32 v5, v10
	v_addc_co_u32_e64 v15, s[2:3], v41, v4, s[2:3]
	v_lshlrev_b64 v[3:4], 2, v[7:8]
	v_mad_u64_u32 v[5:6], s[2:3], s13, v6, v[5:6]
	v_add_u32_e32 v8, 0x188, v2
	v_mad_u64_u32 v[6:7], s[2:3], s12, v8, 0
	v_add_co_u32_e64 v16, s[2:3], v40, v3
	v_mov_b32_e32 v10, v5
	v_mov_b32_e32 v5, v7
	v_addc_co_u32_e64 v17, s[2:3], v41, v4, s[2:3]
	v_lshlrev_b64 v[3:4], 2, v[9:10]
	v_mad_u64_u32 v[7:8], s[2:3], s13, v8, v[5:6]
	v_add_u32_e32 v10, 0x1ea, v2
	v_mad_u64_u32 v[8:9], s[2:3], s12, v10, 0
	v_add_co_u32_e64 v18, s[2:3], v40, v3
	v_mov_b32_e32 v5, v9
	v_addc_co_u32_e64 v19, s[2:3], v41, v4, s[2:3]
	v_lshlrev_b64 v[3:4], 2, v[6:7]
	v_mad_u64_u32 v[5:6], s[2:3], s13, v10, v[5:6]
	v_add_u32_e32 v10, 0x24c, v2
	v_mad_u64_u32 v[6:7], s[2:3], s12, v10, 0
	v_add_co_u32_e64 v20, s[2:3], v40, v3
	v_mov_b32_e32 v9, v5
	v_mov_b32_e32 v5, v7
	v_addc_co_u32_e64 v21, s[2:3], v41, v4, s[2:3]
	v_lshlrev_b64 v[3:4], 2, v[8:9]
	v_mad_u64_u32 v[7:8], s[2:3], s13, v10, v[5:6]
	v_add_u32_e32 v10, 0x2ae, v2
	v_mad_u64_u32 v[8:9], s[2:3], s12, v10, 0
	v_add_co_u32_e64 v22, s[2:3], v40, v3
	v_mov_b32_e32 v5, v9
	v_addc_co_u32_e64 v23, s[2:3], v41, v4, s[2:3]
	v_lshlrev_b64 v[3:4], 2, v[6:7]
	v_mad_u64_u32 v[5:6], s[2:3], s13, v10, v[5:6]
	v_add_co_u32_e64 v24, s[2:3], v40, v3
	v_mov_b32_e32 v9, v5
	v_add_u32_e32 v5, 0x310, v2
	v_addc_co_u32_e64 v25, s[2:3], v41, v4, s[2:3]
	v_mad_u64_u32 v[26:27], s[2:3], s12, v5, 0
	v_lshlrev_b64 v[3:4], 2, v[8:9]
	v_add_co_u32_e64 v28, s[2:3], v40, v3
	v_mov_b32_e32 v3, v27
	v_addc_co_u32_e64 v29, s[2:3], v41, v4, s[2:3]
	v_mad_u64_u32 v[3:4], s[2:3], s13, v5, v[3:4]
	global_load_dword v4, v[12:13], off
	global_load_dword v5, v[14:15], off
	;; [unrolled: 1-line block ×8, first 2 shown]
	v_mad_u64_u32 v[30:31], s[2:3], s12, v32, 0
	v_mov_b32_e32 v27, v3
	v_add_u32_e32 v17, 0x3d4, v2
	v_mov_b32_e32 v3, v31
	v_lshlrev_b64 v[12:13], 2, v[26:27]
	s_waitcnt vmcnt(7)
	v_mad_u64_u32 v[14:15], s[2:3], s13, v32, v[3:4]
	v_mad_u64_u32 v[15:16], s[2:3], s12, v17, 0
	v_add_co_u32_e64 v18, s[2:3], v40, v12
	v_mov_b32_e32 v31, v14
	v_add_u32_e32 v14, 0x436, v2
	v_addc_co_u32_e64 v19, s[2:3], v41, v13, s[2:3]
	v_mov_b32_e32 v3, v16
	v_mad_u64_u32 v[20:21], s[2:3], s12, v14, 0
	v_mad_u64_u32 v[16:17], s[2:3], s13, v17, v[3:4]
	v_lshlrev_b64 v[12:13], 2, v[30:31]
	v_mov_b32_e32 v3, v21
	v_add_co_u32_e64 v22, s[2:3], v40, v12
	v_addc_co_u32_e64 v23, s[2:3], v41, v13, s[2:3]
	v_lshlrev_b64 v[12:13], 2, v[15:16]
	v_mad_u64_u32 v[14:15], s[2:3], s13, v14, v[3:4]
	v_add_u32_e32 v17, 0x498, v2
	v_mad_u64_u32 v[15:16], s[2:3], s12, v17, 0
	v_add_co_u32_e64 v24, s[2:3], v40, v12
	v_mov_b32_e32 v21, v14
	v_add_u32_e32 v14, 0x4fa, v2
	v_addc_co_u32_e64 v25, s[2:3], v41, v13, s[2:3]
	v_lshlrev_b64 v[12:13], 2, v[20:21]
	v_mov_b32_e32 v3, v16
	v_mad_u64_u32 v[20:21], s[2:3], s12, v14, 0
	v_mad_u64_u32 v[16:17], s[2:3], s13, v17, v[3:4]
	v_add_co_u32_e64 v28, s[2:3], v40, v12
	v_mov_b32_e32 v3, v21
	v_addc_co_u32_e64 v29, s[2:3], v41, v13, s[2:3]
	v_lshlrev_b64 v[12:13], 2, v[15:16]
	v_mad_u64_u32 v[14:15], s[2:3], s13, v14, v[3:4]
	v_add_u32_e32 v17, 0x55c, v2
	v_mad_u64_u32 v[15:16], s[2:3], s12, v17, 0
	v_add_co_u32_e64 v30, s[2:3], v40, v12
	v_mov_b32_e32 v21, v14
	v_add_u32_e32 v14, 0x5be, v2
	v_addc_co_u32_e64 v31, s[2:3], v41, v13, s[2:3]
	v_lshlrev_b64 v[12:13], 2, v[20:21]
	v_mov_b32_e32 v3, v16
	v_mad_u64_u32 v[20:21], s[2:3], s12, v14, 0
	v_mad_u64_u32 v[16:17], s[2:3], s13, v17, v[3:4]
	v_add_co_u32_e64 v32, s[2:3], v40, v12
	v_mov_b32_e32 v3, v21
	v_addc_co_u32_e64 v33, s[2:3], v41, v13, s[2:3]
	v_lshlrev_b64 v[12:13], 2, v[15:16]
	v_mad_u64_u32 v[14:15], s[2:3], s13, v14, v[3:4]
	v_add_co_u32_e64 v34, s[2:3], v40, v12
	v_mov_b32_e32 v21, v14
	v_add_u32_e32 v14, 0x620, v2
	v_addc_co_u32_e64 v35, s[2:3], v41, v13, s[2:3]
	v_lshlrev_b64 v[12:13], 2, v[20:21]
	v_mad_u64_u32 v[20:21], s[2:3], s12, v14, 0
	v_add_co_u32_e64 v36, s[2:3], v40, v12
	v_mov_b32_e32 v3, v21
	v_addc_co_u32_e64 v37, s[2:3], v41, v13, s[2:3]
	v_mad_u64_u32 v[38:39], s[2:3], s13, v14, v[3:4]
	global_load_dword v12, v[18:19], off
	global_load_dword v13, v[22:23], off
	;; [unrolled: 1-line block ×8, first 2 shown]
	v_lshrrev_b32_e32 v3, 16, v4
	v_mov_b32_e32 v21, v38
	v_lshlrev_b64 v[18:19], 2, v[20:21]
	s_waitcnt vmcnt(12)
	v_lshrrev_b32_e32 v20, 16, v7
	v_add_co_u32_e64 v18, s[2:3], v40, v18
	v_addc_co_u32_e64 v19, s[2:3], v41, v19, s[2:3]
	global_load_dword v31, v[18:19], off
	v_lshrrev_b32_e32 v18, 16, v5
	v_lshrrev_b32_e32 v19, 16, v6
	s_waitcnt vmcnt(12)
	v_lshrrev_b32_e32 v21, 16, v8
	s_waitcnt vmcnt(11)
	;; [unrolled: 2-line block ×13, first 2 shown]
	v_lshrrev_b32_e32 v36, 16, v31
.LBB0_11:
	s_or_b64 exec, exec, s[4:5]
	s_and_saveexec_b64 s[2:3], s[0:1]
	s_cbranch_execz .LBB0_13
; %bb.12:
	v_add_f16_e32 v40, v5, v31
	s_mov_b32 s6, 0x39e93b76
	v_sub_f16_e32 v41, v18, v36
	s_mov_b32 s4, 0xb964b5c8
	s_mov_b32 s7, 0x2de839e9
	v_pk_mul_f16 v42, v40, s6 op_sel_hi:[0,1]
	v_add_f16_e32 v43, v6, v27
	s_mov_b32 s5, 0xbbf7b964
	v_pk_fma_f16 v37, v41, s4, v42 op_sel_hi:[0,1,1] neg_lo:[1,0,0] neg_hi:[1,0,0]
	v_sub_f16_e32 v44, v19, v35
	v_pk_mul_f16 v45, v43, s7 op_sel_hi:[0,1]
	s_mov_b32 s7, 0xb8d23722
	v_add_f16_e32 v46, v7, v26
	v_pk_add_f16 v37, v4, v37 op_sel_hi:[0,1]
	v_pk_fma_f16 v38, v44, s5, v45 op_sel_hi:[0,1,1] neg_lo:[1,0,0] neg_hi:[1,0,0]
	s_mov_b32 s6, 0xba62bb29
	v_sub_f16_e32 v47, v20, v34
	v_pk_mul_f16 v48, v46, s7 op_sel_hi:[0,1]
	s_mov_b32 s10, 0xbbdd2de8
	v_add_f16_e32 v49, v8, v17
	v_pk_add_f16 v37, v37, v38
	v_pk_fma_f16 v38, v47, s6, v48 op_sel_hi:[0,1,1] neg_lo:[1,0,0] neg_hi:[1,0,0]
	s_mov_b32 s7, 0xb1e1bbf7
	v_sub_f16_e32 v50, v21, v33
	v_pk_mul_f16 v51, v49, s10 op_sel_hi:[0,1]
	s_mov_b32 s11, 0xbacdb461
	v_add_f16_e32 v52, v9, v16
	v_pk_add_f16 v37, v37, v38
	;; [unrolled: 7-line block ×4, first 2 shown]
	v_pk_fma_f16 v38, v56, s11, v57 op_sel_hi:[0,1,1] neg_lo:[1,0,0] neg_hi:[1,0,0]
	s_mov_b32 s16, 0x3b29b836
	v_sub_f16_e32 v59, v24, v29
	v_pk_mul_f16 v60, v58, s17 op_sel_hi:[0,1]
	s_mov_b32 s19, 0x2de83722
	v_pk_add_f16 v37, v38, v37
	v_pk_fma_f16 v38, v59, s16, v60 op_sel_hi:[0,1,1] neg_lo:[1,0,0] neg_hi:[1,0,0]
	s_mov_b32 s17, 0xbbf7bb29
	s_mov_b32 s20, 0xbbddb8d2
	v_pk_mul_f16 v61, v40, s19 op_sel_hi:[0,1]
	v_pk_add_f16 v37, v38, v37
	s_mov_b32 s18, 0xb1e1ba62
	v_pk_fma_f16 v38, v41, s17, v61 op_sel_hi:[0,1,1] neg_lo:[1,0,0] neg_hi:[1,0,0]
	v_pk_mul_f16 v62, v43, s20 op_sel_hi:[0,1]
	s_mov_b32 s19, 0xb461bbdd
	v_pk_add_f16 v38, v4, v38 op_sel_hi:[0,1]
	v_pk_fma_f16 v39, v44, s18, v62 op_sel_hi:[0,1,1] neg_lo:[1,0,0] neg_hi:[1,0,0]
	s_mov_b32 s20, 0x3bb231e1
	v_pk_mul_f16 v63, v46, s19 op_sel_hi:[0,1]
	s_mov_b32 s19, 0x3b76b461
	v_pk_add_f16 v38, v38, v39
	v_pk_fma_f16 v39, v47, s20, v63 op_sel_hi:[0,1,1] neg_lo:[1,0,0] neg_hi:[1,0,0]
	s_mov_b32 s21, 0x35c83bb2
	v_pk_mul_f16 v64, v49, s19 op_sel_hi:[0,1]
	s_mov_b32 s19, 0x372239e9
	v_pk_add_f16 v38, v38, v39
	;; [unrolled: 5-line block ×4, first 2 shown]
	v_pk_fma_f16 v39, v56, s23, v66 op_sel_hi:[0,1,1] neg_lo:[1,0,0] neg_hi:[1,0,0]
	s_mov_b32 s24, 0x3a62bbf7
	v_pk_mul_f16 v67, v58, s19 op_sel_hi:[0,1]
	s_mov_b32 s26, 0x39e9bacd
	v_add_f16_e32 v68, v12, v13
	v_pk_add_f16 v38, v39, v38
	v_pk_fma_f16 v39, v59, s24, v67 op_sel_hi:[0,1,1] neg_lo:[1,0,0] neg_hi:[1,0,0]
	s_mov_b32 s25, 0x3b76bbdd
	s_mov_b32 s27, 0x3964b836
	v_sub_f16_e32 v69, v25, v28
	v_pk_mul_f16 v71, v68, s26 op_sel_hi:[0,1]
	v_pk_add_f16 v38, v39, v38
	s_mov_b32 s19, 0x35c8b1e1
	v_pk_mul_f16 v70, v68, s25 op_sel_hi:[0,1]
	v_pk_fma_f16 v72, v69, s27, v71 op_sel_hi:[0,1,1] neg_lo:[1,0,0] neg_hi:[1,0,0]
	s_mov_b32 s25, 0xb8d2b461
	v_pk_fma_f16 v39, v69, s19, v70 op_sel_hi:[0,1,1] neg_lo:[1,0,0] neg_hi:[1,0,0]
	v_pk_add_f16 v38, v72, v38
	s_mov_b32 s26, 0xba62bbb2
	s_mov_b32 s28, 0xb461bacd
	v_pk_mul_f16 v72, v40, s25 op_sel_hi:[0,1]
	v_pk_add_f16 v37, v39, v37
	s_mov_b32 s29, 0x3bb23836
	v_pk_fma_f16 v39, v41, s26, v72 op_sel_hi:[0,1,1] neg_lo:[1,0,0] neg_hi:[1,0,0]
	v_pk_mul_f16 v73, v43, s28 op_sel_hi:[0,1]
	v_pk_add_f16 v39, v4, v39 op_sel_hi:[0,1]
	v_pk_fma_f16 v74, v44, s29, v73 op_sel_hi:[0,1,1] neg_lo:[1,0,0] neg_hi:[1,0,0]
	s_mov_b32 s25, 0x3b7639e9
	v_pk_add_f16 v39, v39, v74
	s_mov_b32 s28, 0xb5c83964
	v_pk_mul_f16 v74, v46, s25 op_sel_hi:[0,1]
	v_pk_fma_f16 v75, v47, s28, v74 op_sel_hi:[0,1,1] neg_lo:[1,0,0] neg_hi:[1,0,0]
	s_mov_b32 s25, 0xbacd3722
	v_pk_add_f16 v39, v39, v75
	s_mov_b32 s30, 0xb836bb29
	v_pk_mul_f16 v75, v49, s25 op_sel_hi:[0,1]
	;; [unrolled: 5-line block ×6, first 2 shown]
	v_pk_fma_f16 v80, v69, s35, v79 op_sel_hi:[0,1,1] neg_lo:[1,0,0] neg_hi:[1,0,0]
	s_mov_b32 s25, 0xbbddbacd
	v_pk_add_f16 v39, v80, v39
	v_pk_mul_f16 v80, v40, s25 op_sel_hi:[0,1]
	s_mov_b32 s25, 0xb1e1b836
	s_mov_b32 s36, 0x3b763722
	v_pk_mul_f16 v43, v43, s36 op_sel_hi:[0,1]
	s_mov_b32 s36, 0x35c83b29
	v_pk_fma_f16 v40, v41, s25, v80 op_sel_hi:[0,1,1] neg_lo:[1,0,0] neg_hi:[1,0,0]
	s_mov_b32 s37, 0xbacd2de8
	v_pk_add_f16 v40, v4, v40 op_sel_hi:[0,1]
	v_pk_fma_f16 v81, v44, s36, v43 op_sel_hi:[0,1,1] neg_lo:[1,0,0] neg_hi:[1,0,0]
	v_pk_mul_f16 v46, v46, s37 op_sel_hi:[0,1]
	s_mov_b32 s37, 0xb836bbf7
	s_mov_b32 s38, 0x39e9b8d2
	v_pk_add_f16 v40, v40, v81
	v_pk_fma_f16 v81, v47, s37, v46 op_sel_hi:[0,1,1] neg_lo:[1,0,0] neg_hi:[1,0,0]
	v_pk_mul_f16 v49, v49, s38 op_sel_hi:[0,1]
	s_mov_b32 s38, 0x39643a62
	s_mov_b32 s39, 0xb8d23b76
	v_pk_add_f16 v40, v40, v81
	;; [unrolled: 5-line block ×5, first 2 shown]
	v_pk_fma_f16 v81, v59, s41, v58 op_sel_hi:[0,1,1] neg_lo:[1,0,0] neg_hi:[1,0,0]
	v_pk_mul_f16 v68, v68, s42 op_sel_hi:[0,1]
	s_mov_b32 s42, 0x3bf7bbb2
	v_pk_add_f16 v40, v81, v40
	v_pk_fma_f16 v81, v69, s42, v68 op_sel_hi:[0,1,1] neg_lo:[1,0,0] neg_hi:[1,0,0]
	v_pk_add_f16 v40, v81, v40
	v_mad_u32_u24 v81, v2, 34, 0
	ds_write_b128 v81, v[37:40] offset:2
	v_pk_fma_f16 v37, v41, s25, v80 op_sel_hi:[0,1,1]
	v_pk_add_f16 v37, v4, v37 op_sel_hi:[0,1]
	v_pk_fma_f16 v38, v44, s36, v43 op_sel_hi:[0,1,1]
	v_pk_add_f16 v37, v37, v38
	v_pk_fma_f16 v38, v47, s37, v46 op_sel_hi:[0,1,1]
	v_pk_add_f16 v37, v37, v38
	v_pk_fma_f16 v38, v50, s38, v49 op_sel_hi:[0,1,1]
	v_pk_add_f16 v37, v38, v37
	v_pk_fma_f16 v38, v53, s39, v52 op_sel_hi:[0,1,1]
	v_pk_add_f16 v37, v38, v37
	v_pk_fma_f16 v38, v56, s40, v55 op_sel_hi:[0,1,1]
	v_pk_add_f16 v37, v38, v37
	v_pk_fma_f16 v38, v59, s41, v58 op_sel_hi:[0,1,1]
	v_pk_add_f16 v37, v38, v37
	v_pk_fma_f16 v38, v69, s42, v68 op_sel_hi:[0,1,1]
	v_pk_add_f16 v37, v38, v37
	v_pk_fma_f16 v38, v41, s26, v72 op_sel_hi:[0,1,1]
	v_pk_add_f16 v38, v4, v38 op_sel_hi:[0,1]
	v_pk_fma_f16 v39, v44, s29, v73 op_sel_hi:[0,1,1]
	v_pk_add_f16 v38, v38, v39
	v_pk_fma_f16 v39, v47, s28, v74 op_sel_hi:[0,1,1]
	v_pk_add_f16 v38, v38, v39
	v_pk_fma_f16 v39, v50, s30, v75 op_sel_hi:[0,1,1]
	v_pk_add_f16 v38, v39, v38
	v_pk_fma_f16 v39, v53, s31, v76 op_sel_hi:[0,1,1]
	v_pk_add_f16 v38, v39, v38
	v_pk_fma_f16 v39, v56, s33, v77 op_sel_hi:[0,1,1]
	v_pk_add_f16 v38, v39, v38
	v_pk_fma_f16 v39, v59, s34, v78 op_sel_hi:[0,1,1]
	v_pk_add_f16 v38, v39, v38
	v_pk_fma_f16 v39, v69, s35, v79 op_sel_hi:[0,1,1]
	v_pk_add_f16 v38, v39, v38
	;; [unrolled: 16-line block ×3, first 2 shown]
	v_pk_fma_f16 v40, v41, s4, v42 op_sel_hi:[0,1,1]
	v_pk_add_f16 v40, v4, v40 op_sel_hi:[0,1]
	v_add_f16_e32 v4, v4, v5
	v_add_f16_e32 v4, v4, v6
	;; [unrolled: 1-line block ×7, first 2 shown]
	v_pk_fma_f16 v41, v44, s5, v45 op_sel_hi:[0,1,1]
	v_add_f16_e32 v4, v4, v12
	v_pk_add_f16 v40, v40, v41
	v_pk_fma_f16 v41, v47, s6, v48 op_sel_hi:[0,1,1]
	v_add_f16_e32 v4, v4, v13
	v_pk_add_f16 v40, v40, v41
	;; [unrolled: 3-line block ×7, first 2 shown]
	v_add_f16_e32 v4, v27, v4
	v_alignbit_b32 v37, v37, v37, 16
	v_alignbit_b32 v38, v38, v38, 16
	v_alignbit_b32 v39, v39, v39, 16
	v_alignbit_b32 v40, v40, v40, 16
	v_add_f16_e32 v4, v31, v4
	ds_write_b128 v81, v[37:40] offset:18
	ds_write_b16 v81, v4
.LBB0_13:
	s_or_b64 exec, exec, s[2:3]
	v_lshl_add_u32 v4, v2, 1, 0
	s_waitcnt lgkmcnt(0)
	s_barrier
	ds_read_u16 v43, v4
	ds_read_u16 v42, v4 offset:238
	ds_read_u16 v41, v4 offset:476
	;; [unrolled: 1-line block ×13, first 2 shown]
	s_waitcnt lgkmcnt(0)
	s_barrier
	s_and_saveexec_b64 s[2:3], s[0:1]
	s_cbranch_execz .LBB0_15
; %bb.14:
	v_sub_f16_e32 v31, v5, v31
	s_mov_b32 s1, 0xb964b5c8
	v_add_f16_e32 v51, v3, v18
	v_add_f16_e32 v18, v18, v36
	v_sub_f16_e32 v27, v6, v27
	s_mov_b32 s0, 0x39e93b76
	v_pk_mul_f16 v6, v31, s1 op_sel_hi:[0,1]
	s_mov_b32 s4, 0xbbf7b964
	v_add_f16_e32 v51, v51, v19
	v_add_f16_e32 v19, v19, v35
	v_sub_f16_e32 v26, v7, v26
	v_pk_fma_f16 v5, v18, s0, v6 op_sel_hi:[0,1,1]
	s_mov_b32 s1, 0x2de839e9
	v_pk_mul_f16 v7, v27, s4 op_sel_hi:[0,1]
	v_add_f16_e32 v51, v51, v20
	v_sub_f16_e32 v12, v12, v13
	v_pk_add_f16 v5, v3, v5 op_sel_hi:[0,1]
	v_pk_fma_f16 v13, v19, s1, v7 op_sel_hi:[0,1,1]
	s_mov_b32 s5, 0xba62bb29
	v_add_f16_e32 v51, v51, v21
	v_add_f16_e32 v20, v20, v34
	v_pk_add_f16 v5, v5, v13
	s_mov_b32 s4, 0xb8d23722
	v_pk_mul_f16 v13, v26, s5 op_sel_hi:[0,1]
	v_add_f16_e32 v51, v51, v22
	v_sub_f16_e32 v8, v8, v17
	v_add_f16_e32 v17, v22, v32
	v_pk_fma_f16 v22, v20, s4, v13 op_sel_hi:[0,1,1]
	s_mov_b32 s6, 0xb1e1bbf7
	v_add_f16_e32 v21, v21, v33
	v_pk_add_f16 v5, v5, v22
	s_mov_b32 s5, 0xbbdd2de8
	v_pk_mul_f16 v22, v8, s6 op_sel_hi:[0,1]
	v_add_f16_e32 v51, v51, v23
	v_sub_f16_e32 v9, v9, v16
	v_add_f16_e32 v16, v23, v30
	v_pk_fma_f16 v23, v21, s5, v22 op_sel_hi:[0,1,1]
	s_mov_b32 s7, 0x3836bbb2
	v_pk_add_f16 v5, v23, v5
	s_mov_b32 s6, 0xbacdb461
	v_pk_mul_f16 v23, v9, s7 op_sel_hi:[0,1]
	v_pk_fma_f16 v6, v18, s0, v6 op_sel_hi:[0,1,1] neg_lo:[0,0,1] neg_hi:[0,0,1]
	v_add_f16_e32 v51, v51, v24
	v_sub_f16_e32 v10, v10, v15
	v_add_f16_e32 v15, v24, v29
	v_pk_fma_f16 v24, v17, s6, v23 op_sel_hi:[0,1,1]
	s_mov_b32 s10, 0x3bb2ba62
	v_pk_add_f16 v6, v3, v6 op_sel_hi:[0,1]
	v_pk_fma_f16 v7, v19, s1, v7 op_sel_hi:[0,1,1] neg_lo:[0,0,1] neg_hi:[0,0,1]
	v_pk_add_f16 v5, v24, v5
	s_mov_b32 s7, 0xb461b8d2
	v_pk_mul_f16 v24, v10, s10 op_sel_hi:[0,1]
	v_pk_add_f16 v6, v6, v7
	v_pk_fma_f16 v7, v20, s4, v13 op_sel_hi:[0,1,1] neg_lo:[0,0,1] neg_hi:[0,0,1]
	v_add_f16_e32 v51, v51, v25
	v_sub_f16_e32 v11, v11, v14
	v_add_f16_e32 v14, v25, v28
	v_pk_fma_f16 v25, v16, s7, v24 op_sel_hi:[0,1,1]
	s_mov_b32 s11, 0x3b29b836
	v_pk_add_f16 v6, v6, v7
	v_pk_fma_f16 v7, v21, s5, v22 op_sel_hi:[0,1,1] neg_lo:[0,0,1] neg_hi:[0,0,1]
	v_pk_add_f16 v5, v25, v5
	s_mov_b32 s10, 0x3722bacd
	v_pk_mul_f16 v25, v11, s11 op_sel_hi:[0,1]
	v_pk_add_f16 v6, v7, v6
	v_pk_fma_f16 v7, v17, s6, v23 op_sel_hi:[0,1,1] neg_lo:[0,0,1] neg_hi:[0,0,1]
	v_add_f16_e32 v51, v51, v28
	v_pk_fma_f16 v28, v15, s10, v25 op_sel_hi:[0,1,1]
	s_mov_b32 s16, 0x35c8b1e1
	v_pk_add_f16 v6, v7, v6
	v_pk_fma_f16 v7, v16, s7, v24 op_sel_hi:[0,1,1] neg_lo:[0,0,1] neg_hi:[0,0,1]
	v_pk_add_f16 v5, v28, v5
	s_mov_b32 s11, 0x3b76bbdd
	v_pk_mul_f16 v28, v12, s16 op_sel_hi:[0,1]
	v_pk_add_f16 v6, v7, v6
	v_pk_fma_f16 v7, v15, s10, v25 op_sel_hi:[0,1,1] neg_lo:[0,0,1] neg_hi:[0,0,1]
	v_pk_add_f16 v6, v7, v6
	v_pk_fma_f16 v7, v14, s11, v28 op_sel_hi:[0,1,1] neg_lo:[0,0,1] neg_hi:[0,0,1]
	s_mov_b32 s1, 0xbbf7bb29
	v_pk_add_f16 v13, v7, v6
	s_mov_b32 s0, 0x2de83722
	v_pk_mul_f16 v7, v31, s1 op_sel_hi:[0,1]
	s_mov_b32 s4, 0xb1e1ba62
	v_pk_fma_f16 v6, v18, s0, v7 op_sel_hi:[0,1,1]
	s_mov_b32 s1, 0xbbddb8d2
	v_pk_mul_f16 v22, v27, s4 op_sel_hi:[0,1]
	v_pk_add_f16 v6, v3, v6 op_sel_hi:[0,1]
	v_pk_fma_f16 v23, v19, s1, v22 op_sel_hi:[0,1,1]
	s_mov_b32 s5, 0x3bb231e1
	v_pk_add_f16 v6, v6, v23
	s_mov_b32 s4, 0xb461bbdd
	v_pk_mul_f16 v23, v26, s5 op_sel_hi:[0,1]
	v_pk_fma_f16 v24, v20, s4, v23 op_sel_hi:[0,1,1]
	s_mov_b32 s6, 0x35c83bb2
	v_pk_add_f16 v6, v6, v24
	s_mov_b32 s5, 0x3b76b461
	v_pk_mul_f16 v24, v8, s6 op_sel_hi:[0,1]
	;; [unrolled: 5-line block ×3, first 2 shown]
	v_pk_fma_f16 v7, v18, s0, v7 op_sel_hi:[0,1,1] neg_lo:[0,0,1] neg_hi:[0,0,1]
	v_add_f16_e32 v51, v51, v29
	v_pk_fma_f16 v29, v14, s11, v28 op_sel_hi:[0,1,1]
	v_pk_fma_f16 v28, v17, s6, v25 op_sel_hi:[0,1,1]
	s_mov_b32 s10, 0xb836b5c8
	v_pk_add_f16 v7, v3, v7 op_sel_hi:[0,1]
	v_pk_fma_f16 v22, v19, s1, v22 op_sel_hi:[0,1,1] neg_lo:[0,0,1] neg_hi:[0,0,1]
	v_pk_add_f16 v6, v28, v6
	s_mov_b32 s7, 0xbacd3b76
	v_pk_mul_f16 v28, v10, s10 op_sel_hi:[0,1]
	v_pk_add_f16 v7, v7, v22
	v_pk_fma_f16 v22, v20, s4, v23 op_sel_hi:[0,1,1] neg_lo:[0,0,1] neg_hi:[0,0,1]
	v_pk_add_f16 v5, v29, v5
	v_pk_fma_f16 v29, v16, s7, v28 op_sel_hi:[0,1,1]
	s_mov_b32 s11, 0x3a62bbf7
	v_pk_add_f16 v7, v7, v22
	v_pk_fma_f16 v22, v21, s5, v24 op_sel_hi:[0,1,1] neg_lo:[0,0,1] neg_hi:[0,0,1]
	v_pk_add_f16 v6, v29, v6
	s_mov_b32 s10, 0xb8d22de8
	v_pk_mul_f16 v29, v11, s11 op_sel_hi:[0,1]
	v_pk_add_f16 v7, v22, v7
	v_pk_fma_f16 v22, v17, s6, v25 op_sel_hi:[0,1,1] neg_lo:[0,0,1] neg_hi:[0,0,1]
	v_add_f16_e32 v51, v51, v30
	v_pk_fma_f16 v30, v15, s10, v29 op_sel_hi:[0,1,1]
	s_mov_b32 s16, 0x3964b836
	v_pk_add_f16 v7, v22, v7
	v_pk_fma_f16 v22, v16, s7, v28 op_sel_hi:[0,1,1] neg_lo:[0,0,1] neg_hi:[0,0,1]
	v_pk_add_f16 v6, v30, v6
	s_mov_b32 s11, 0x39e9bacd
	v_pk_mul_f16 v30, v12, s16 op_sel_hi:[0,1]
	v_pk_add_f16 v7, v22, v7
	v_pk_fma_f16 v22, v15, s10, v29 op_sel_hi:[0,1,1] neg_lo:[0,0,1] neg_hi:[0,0,1]
	s_mov_b32 s1, 0xba62bbb2
	v_pk_add_f16 v7, v22, v7
	v_pk_fma_f16 v22, v14, s11, v30 op_sel_hi:[0,1,1] neg_lo:[0,0,1] neg_hi:[0,0,1]
	s_mov_b32 s0, 0xb8d2b461
	v_pk_mul_f16 v23, v31, s1 op_sel_hi:[0,1]
	s_mov_b32 s4, 0x3bb23836
	v_pk_add_f16 v22, v22, v7
	v_pk_fma_f16 v7, v18, s0, v23 op_sel_hi:[0,1,1]
	s_mov_b32 s1, 0xb461bacd
	v_pk_mul_f16 v24, v27, s4 op_sel_hi:[0,1]
	v_pk_add_f16 v7, v3, v7 op_sel_hi:[0,1]
	v_pk_fma_f16 v25, v19, s1, v24 op_sel_hi:[0,1,1]
	s_mov_b32 s5, 0xb5c83964
	v_pk_add_f16 v7, v7, v25
	s_mov_b32 s4, 0x3b7639e9
	v_pk_mul_f16 v25, v26, s5 op_sel_hi:[0,1]
	v_pk_fma_f16 v28, v20, s4, v25 op_sel_hi:[0,1,1]
	s_mov_b32 s6, 0xb836bb29
	v_pk_add_f16 v7, v7, v28
	s_mov_b32 s5, 0xbacd3722
	v_pk_mul_f16 v28, v8, s6 op_sel_hi:[0,1]
	v_pk_fma_f16 v29, v21, s5, v28 op_sel_hi:[0,1,1]
	s_mov_b32 s7, 0x3bf7b1e1
	v_pk_add_f16 v7, v29, v7
	s_mov_b32 s6, 0x2de8bbdd
	v_pk_mul_f16 v29, v9, s7 op_sel_hi:[0,1]
	v_pk_fma_f16 v23, v18, s0, v23 op_sel_hi:[0,1,1] neg_lo:[0,0,1] neg_hi:[0,0,1]
	v_add_f16_e32 v51, v51, v32
	v_pk_fma_f16 v32, v14, s11, v30 op_sel_hi:[0,1,1]
	v_pk_fma_f16 v30, v17, s6, v29 op_sel_hi:[0,1,1]
	s_mov_b32 s10, 0xb9643bf7
	v_pk_add_f16 v23, v3, v23 op_sel_hi:[0,1]
	v_pk_fma_f16 v24, v19, s1, v24 op_sel_hi:[0,1,1] neg_lo:[0,0,1] neg_hi:[0,0,1]
	v_pk_add_f16 v7, v30, v7
	s_mov_b32 s7, 0x39e92de8
	v_pk_mul_f16 v30, v10, s10 op_sel_hi:[0,1]
	v_pk_add_f16 v23, v23, v24
	v_pk_fma_f16 v24, v20, s4, v25 op_sel_hi:[0,1,1] neg_lo:[0,0,1] neg_hi:[0,0,1]
	v_pk_add_f16 v6, v32, v6
	v_pk_fma_f16 v32, v16, s7, v30 op_sel_hi:[0,1,1]
	s_mov_b32 s11, 0xb1e1b5c8
	v_pk_add_f16 v23, v23, v24
	v_pk_fma_f16 v24, v21, s5, v28 op_sel_hi:[0,1,1] neg_lo:[0,0,1] neg_hi:[0,0,1]
	v_pk_add_f16 v7, v32, v7
	s_mov_b32 s10, 0xbbdd3b76
	v_pk_mul_f16 v32, v11, s11 op_sel_hi:[0,1]
	v_pk_add_f16 v23, v24, v23
	v_pk_fma_f16 v24, v17, s6, v29 op_sel_hi:[0,1,1] neg_lo:[0,0,1] neg_hi:[0,0,1]
	v_add_f16_e32 v51, v51, v33
	v_pk_fma_f16 v33, v15, s10, v32 op_sel_hi:[0,1,1]
	s_mov_b32 s16, 0x3b29ba62
	v_pk_add_f16 v23, v24, v23
	v_pk_fma_f16 v24, v16, s7, v30 op_sel_hi:[0,1,1] neg_lo:[0,0,1] neg_hi:[0,0,1]
	v_pk_add_f16 v7, v33, v7
	s_mov_b32 s11, 0x3722b8d2
	v_pk_mul_f16 v33, v12, s16 op_sel_hi:[0,1]
	v_pk_add_f16 v23, v24, v23
	v_pk_fma_f16 v24, v15, s10, v32 op_sel_hi:[0,1,1] neg_lo:[0,0,1] neg_hi:[0,0,1]
	v_pk_add_f16 v23, v24, v23
	v_pk_fma_f16 v24, v14, s11, v33 op_sel_hi:[0,1,1] neg_lo:[0,0,1] neg_hi:[0,0,1]
	s_mov_b32 s1, 0xb1e1b836
	v_pk_add_f16 v23, v24, v23
	s_mov_b32 s0, 0xbbddbacd
	v_pk_mul_f16 v24, v31, s1 op_sel_hi:[0,1]
	s_mov_b32 s4, 0x35c83b29
	v_pk_fma_f16 v25, v18, s0, v24 op_sel_hi:[0,1,1]
	s_mov_b32 s1, 0x3b763722
	v_pk_mul_f16 v27, v27, s4 op_sel_hi:[0,1]
	s_mov_b32 s5, 0xb836bbf7
	v_pk_add_f16 v25, v3, v25 op_sel_hi:[0,1]
	v_pk_fma_f16 v28, v19, s1, v27 op_sel_hi:[0,1,1]
	s_mov_b32 s4, 0xbacd2de8
	v_pk_mul_f16 v26, v26, s5 op_sel_hi:[0,1]
	v_pk_fma_f16 v18, v18, s0, v24 op_sel_hi:[0,1,1] neg_lo:[0,0,1] neg_hi:[0,0,1]
	v_pk_add_f16 v25, v25, v28
	v_pk_fma_f16 v28, v20, s4, v26 op_sel_hi:[0,1,1]
	s_mov_b32 s6, 0x39643a62
	v_pk_add_f16 v3, v3, v18 op_sel_hi:[0,1]
	v_pk_fma_f16 v18, v19, s1, v27 op_sel_hi:[0,1,1] neg_lo:[0,0,1] neg_hi:[0,0,1]
	v_pk_add_f16 v25, v25, v28
	s_mov_b32 s5, 0x39e9b8d2
	v_pk_mul_f16 v28, v8, s6 op_sel_hi:[0,1]
	s_mov_b32 s7, 0xba62b5c8
	v_pk_add_f16 v3, v3, v18
	v_pk_fma_f16 v18, v20, s4, v26 op_sel_hi:[0,1,1] neg_lo:[0,0,1] neg_hi:[0,0,1]
	v_pk_fma_f16 v8, v21, s5, v28 op_sel_hi:[0,1,1]
	s_mov_b32 s6, 0xb8d23b76
	v_pk_mul_f16 v9, v9, s7 op_sel_hi:[0,1]
	s_mov_b32 s10, 0x3b29b1e1
	v_pk_add_f16 v3, v3, v18
	v_pk_fma_f16 v18, v21, s5, v28 op_sel_hi:[0,1,1] neg_lo:[0,0,1] neg_hi:[0,0,1]
	v_add_f16_e32 v51, v51, v34
	v_pk_fma_f16 v34, v14, s11, v33 op_sel_hi:[0,1,1]
	v_pk_add_f16 v8, v8, v25
	v_pk_fma_f16 v25, v17, s6, v9 op_sel_hi:[0,1,1]
	s_mov_b32 s7, 0x3722bbdd
	v_pk_mul_f16 v10, v10, s10 op_sel_hi:[0,1]
	s_mov_b32 s11, 0xbbb23964
	v_pk_add_f16 v3, v18, v3
	v_pk_fma_f16 v9, v17, s6, v9 op_sel_hi:[0,1,1] neg_lo:[0,0,1] neg_hi:[0,0,1]
	v_pk_add_f16 v8, v25, v8
	v_pk_fma_f16 v25, v16, s7, v10 op_sel_hi:[0,1,1]
	s_mov_b32 s10, 0xb46139e9
	v_pk_mul_f16 v11, v11, s11 op_sel_hi:[0,1]
	s_mov_b32 s16, 0x3bf7bbb2
	v_pk_add_f16 v3, v9, v3
	v_pk_fma_f16 v9, v16, s7, v10 op_sel_hi:[0,1,1] neg_lo:[0,0,1] neg_hi:[0,0,1]
	v_pk_add_f16 v8, v25, v8
	v_pk_fma_f16 v25, v15, s10, v11 op_sel_hi:[0,1,1]
	s_mov_b32 s11, 0x2de8b461
	v_pk_mul_f16 v12, v12, s16 op_sel_hi:[0,1]
	v_pk_add_f16 v3, v9, v3
	v_pk_fma_f16 v9, v15, s10, v11 op_sel_hi:[0,1,1] neg_lo:[0,0,1] neg_hi:[0,0,1]
	v_add_f16_e32 v51, v35, v51
	v_pk_add_f16 v8, v25, v8
	v_pk_fma_f16 v25, v14, s11, v12 op_sel_hi:[0,1,1]
	v_pk_add_f16 v3, v9, v3
	v_pk_fma_f16 v9, v14, s11, v12 op_sel_hi:[0,1,1] neg_lo:[0,0,1] neg_hi:[0,0,1]
	v_add_f16_e32 v51, v36, v51
	v_pk_add_f16 v7, v34, v7
	v_pk_add_f16 v8, v25, v8
	;; [unrolled: 1-line block ×3, first 2 shown]
	v_lshl_add_u32 v9, v2, 5, v4
	ds_write_b16 v9, v51
	ds_write_b128 v9, v[5:8] offset:2
	v_alignbit_b32 v5, v3, v3, 16
	v_alignbit_b32 v6, v23, v23, 16
	;; [unrolled: 1-line block ×4, first 2 shown]
	ds_write_b128 v9, v[5:8] offset:18
.LBB0_15:
	s_or_b64 exec, exec, s[2:3]
	v_add_u32_e32 v3, 0x77, v2
	s_movk_i32 s0, 0xf1
	v_add_u32_e32 v6, 0xee, v2
	v_add_u32_e32 v7, 0x165, v2
	v_mul_lo_u16_sdwa v8, v2, s0 dst_sel:DWORD dst_unused:UNUSED_PAD src0_sel:BYTE_0 src1_sel:DWORD
	v_mul_lo_u16_sdwa v13, v3, s0 dst_sel:DWORD dst_unused:UNUSED_PAD src0_sel:BYTE_0 src1_sel:DWORD
	s_mov_b32 s0, 0xf0f1
	v_add_u32_e32 v5, 0x1dc, v2
	v_mul_u32_u24_sdwa v16, v6, s0 dst_sel:DWORD dst_unused:UNUSED_PAD src0_sel:WORD_0 src1_sel:DWORD
	v_mul_u32_u24_sdwa v19, v7, s0 dst_sel:DWORD dst_unused:UNUSED_PAD src0_sel:WORD_0 src1_sel:DWORD
	v_add_u32_e32 v25, 0x253, v2
	v_lshrrev_b16_e32 v9, 12, v8
	v_lshrrev_b16_e32 v14, 12, v13
	v_lshrrev_b32_e32 v16, 20, v16
	v_lshrrev_b32_e32 v19, 20, v19
	v_mul_u32_u24_sdwa v21, v5, s0 dst_sel:DWORD dst_unused:UNUSED_PAD src0_sel:WORD_0 src1_sel:DWORD
	v_mul_u32_u24_sdwa v26, v25, s0 dst_sel:DWORD dst_unused:UNUSED_PAD src0_sel:WORD_0 src1_sel:DWORD
	v_mul_lo_u16_e32 v10, 17, v9
	v_mul_lo_u16_e32 v15, 17, v14
	;; [unrolled: 1-line block ×4, first 2 shown]
	v_lshrrev_b32_e32 v21, 20, v21
	v_lshrrev_b32_e32 v26, 20, v26
	v_sub_u16_e32 v10, v2, v10
	v_mov_b32_e32 v11, 2
	v_sub_u16_e32 v15, v3, v15
	v_sub_u16_e32 v17, v6, v17
	;; [unrolled: 1-line block ×3, first 2 shown]
	v_mul_lo_u16_e32 v22, 17, v21
	v_mul_lo_u16_e32 v27, 17, v26
	v_lshlrev_b32_sdwa v12, v11, v10 dst_sel:DWORD dst_unused:UNUSED_PAD src0_sel:DWORD src1_sel:BYTE_0
	v_lshlrev_b32_sdwa v11, v11, v15 dst_sel:DWORD dst_unused:UNUSED_PAD src0_sel:DWORD src1_sel:BYTE_0
	v_lshlrev_b32_e32 v18, 2, v17
	v_lshlrev_b32_e32 v7, 2, v20
	v_sub_u16_e32 v22, v5, v22
	v_sub_u16_e32 v25, v25, v27
	s_waitcnt lgkmcnt(0)
	s_barrier
	global_load_dword v11, v11, s[8:9]
	v_lshlrev_b32_e32 v27, 2, v25
	global_load_dword v18, v18, s[8:9]
	v_mul_u32_u24_e32 v9, 0x44, v9
	global_load_dword v23, v7, s[8:9]
	v_lshlrev_b32_e32 v7, 2, v22
	global_load_dword v12, v12, s[8:9]
	s_movk_i32 s10, 0x2b26
	global_load_dword v27, v27, s[8:9]
	s_mov_b32 s6, 0xbcab
	global_load_dword v24, v7, s[8:9]
	v_add_u32_e32 v7, 0x2ca, v2
	v_mul_u32_u24_sdwa v28, v7, s0 dst_sel:DWORD dst_unused:UNUSED_PAD src0_sel:WORD_0 src1_sel:DWORD
	v_lshrrev_b32_e32 v28, 20, v28
	v_mul_lo_u16_e32 v29, 17, v28
	v_sub_u16_e32 v29, v7, v29
	v_lshlrev_b32_e32 v30, 2, v29
	global_load_dword v30, v30, s[8:9]
	ds_read_u16 v31, v4
	ds_read_u16 v32, v4 offset:238
	ds_read_u16 v33, v4 offset:476
	;; [unrolled: 1-line block ×13, first 2 shown]
	s_waitcnt vmcnt(0) lgkmcnt(0)
	s_barrier
	s_movk_i32 s0, 0x3b00
	s_movk_i32 s1, 0x39e0
	s_mov_b32 s2, 0xb9e0
	s_movk_i32 s7, 0x3574
	s_mov_b32 s3, 0xb574
	s_movk_i32 s4, 0x370e
	s_movk_i32 s5, 0x3a52
	v_mul_f16_sdwa v61, v53, v11 dst_sel:DWORD dst_unused:UNUSED_PAD src0_sel:DWORD src1_sel:WORD_1
	v_mul_f16_sdwa v62, v50, v11 dst_sel:DWORD dst_unused:UNUSED_PAD src0_sel:DWORD src1_sel:WORD_1
	v_fma_f16 v50, v50, v11, -v61
	v_mul_f16_sdwa v63, v54, v18 dst_sel:DWORD dst_unused:UNUSED_PAD src0_sel:DWORD src1_sel:WORD_1
	v_mul_f16_sdwa v65, v55, v23 dst_sel:DWORD dst_unused:UNUSED_PAD src0_sel:DWORD src1_sel:WORD_1
	;; [unrolled: 1-line block ×5, first 2 shown]
	v_fma_f16 v48, v48, v12, -v59
	v_fma_f16 v12, v51, v12, v60
	v_mul_f16_sdwa v51, v57, v27 dst_sel:DWORD dst_unused:UNUSED_PAD src0_sel:DWORD src1_sel:WORD_1
	v_fma_f16 v51, v45, v27, -v51
	v_mul_f16_sdwa v45, v45, v27 dst_sel:DWORD dst_unused:UNUSED_PAD src0_sel:DWORD src1_sel:WORD_1
	v_fma_f16 v27, v57, v27, v45
	v_mul_f16_sdwa v67, v56, v24 dst_sel:DWORD dst_unused:UNUSED_PAD src0_sel:DWORD src1_sel:WORD_1
	v_mul_f16_sdwa v66, v47, v23 dst_sel:DWORD dst_unused:UNUSED_PAD src0_sel:DWORD src1_sel:WORD_1
	;; [unrolled: 1-line block ×4, first 2 shown]
	v_fma_f16 v45, v44, v30, -v45
	v_mul_f16_sdwa v44, v44, v30 dst_sel:DWORD dst_unused:UNUSED_PAD src0_sel:DWORD src1_sel:WORD_1
	v_fma_f16 v30, v58, v30, v44
	v_sub_f16_e32 v30, v52, v30
	v_sub_f16_e32 v44, v43, v48
	;; [unrolled: 1-line block ×4, first 2 shown]
	v_fma_f16 v51, v52, 2.0, -v30
	v_mov_b32_e32 v52, 1
	v_lshlrev_b32_sdwa v10, v52, v10 dst_sel:DWORD dst_unused:UNUSED_PAD src0_sel:DWORD src1_sel:BYTE_0
	v_add3_u32 v9, 0, v9, v10
	v_mul_u32_u24_e32 v10, 0x44, v14
	v_lshlrev_b32_sdwa v14, v52, v15 dst_sel:DWORD dst_unused:UNUSED_PAD src0_sel:DWORD src1_sel:BYTE_0
	v_add3_u32 v10, 0, v10, v14
	v_mul_u32_u24_e32 v14, 0x44, v16
	v_lshlrev_b32_e32 v15, 1, v17
	v_add3_u32 v14, 0, v14, v15
	v_mul_u32_u24_e32 v15, 0x44, v19
	v_lshlrev_b32_e32 v16, 1, v20
	;; [unrolled: 3-line block ×3, first 2 shown]
	v_fma_f16 v49, v49, v18, -v63
	v_fma_f16 v47, v47, v23, -v65
	;; [unrolled: 1-line block ×3, first 2 shown]
	v_add3_u32 v16, 0, v16, v17
	v_mul_u32_u24_e32 v17, 0x44, v26
	v_lshlrev_b32_e32 v19, 1, v25
	v_fma_f16 v11, v53, v11, v62
	v_fma_f16 v18, v54, v18, v64
	;; [unrolled: 1-line block ×4, first 2 shown]
	v_sub_f16_e32 v12, v31, v12
	v_sub_f16_e32 v49, v41, v49
	;; [unrolled: 1-line block ×5, first 2 shown]
	v_add3_u32 v17, 0, v17, v19
	v_mul_u32_u24_e32 v19, 0x44, v28
	v_lshlrev_b32_e32 v20, 1, v29
	v_fma_f16 v43, v43, 2.0, -v44
	v_fma_f16 v31, v31, 2.0, -v12
	v_sub_f16_e32 v11, v32, v11
	v_fma_f16 v42, v42, 2.0, -v48
	v_sub_f16_e32 v18, v33, v18
	;; [unrolled: 2-line block ×5, first 2 shown]
	v_fma_f16 v38, v38, 2.0, -v50
	v_fma_f16 v37, v37, 2.0, -v45
	v_add3_u32 v19, 0, v19, v20
	v_fma_f16 v32, v32, 2.0, -v11
	v_fma_f16 v33, v33, 2.0, -v18
	v_fma_f16 v34, v34, 2.0, -v23
	v_fma_f16 v35, v35, 2.0, -v24
	v_fma_f16 v36, v36, 2.0, -v27
	ds_write_b16 v9, v43
	ds_write_b16 v9, v44 offset:34
	ds_write_b16 v10, v42
	ds_write_b16 v10, v48 offset:34
	;; [unrolled: 2-line block ×7, first 2 shown]
	s_waitcnt lgkmcnt(0)
	s_barrier
	ds_read_u16 v20, v4
	ds_read_u16 v21, v4 offset:1904
	ds_read_u16 v22, v4 offset:1666
	;; [unrolled: 1-line block ×13, first 2 shown]
	s_waitcnt lgkmcnt(0)
	s_barrier
	ds_write_b16 v9, v31
	ds_write_b16 v9, v12 offset:34
	ds_write_b16 v10, v32
	ds_write_b16 v10, v11 offset:34
	;; [unrolled: 2-line block ×7, first 2 shown]
	v_lshrrev_b16_e32 v23, 13, v8
	v_mul_lo_u16_e32 v8, 34, v23
	v_sub_u16_e32 v24, v2, v8
	v_mov_b32_e32 v12, 6
	v_mul_u32_u24_sdwa v8, v24, v12 dst_sel:DWORD dst_unused:UNUSED_PAD src0_sel:BYTE_0 src1_sel:DWORD
	v_lshlrev_b32_e32 v14, 2, v8
	s_waitcnt lgkmcnt(0)
	s_barrier
	global_load_dwordx4 v[8:11], v14, s[8:9] offset:68
	global_load_dwordx2 v[16:17], v14, s[8:9] offset:84
	v_lshrrev_b16_e32 v27, 13, v13
	v_mul_lo_u16_e32 v13, 34, v27
	v_sub_u16_e32 v30, v3, v13
	v_mul_u32_u24_sdwa v12, v30, v12 dst_sel:DWORD dst_unused:UNUSED_PAD src0_sel:BYTE_0 src1_sel:DWORD
	v_lshlrev_b32_e32 v31, 2, v12
	global_load_dwordx4 v[12:15], v31, s[8:9] offset:68
	global_load_dwordx2 v[18:19], v31, s[8:9] offset:84
	ds_read_u16 v31, v4
	ds_read_u16 v32, v4 offset:1904
	ds_read_u16 v33, v4 offset:1666
	;; [unrolled: 1-line block ×13, first 2 shown]
	s_waitcnt vmcnt(0) lgkmcnt(0)
	s_barrier
	v_mul_f16_sdwa v53, v45, v8 dst_sel:DWORD dst_unused:UNUSED_PAD src0_sel:DWORD src1_sel:WORD_1
	v_fma_f16 v53, v37, v8, -v53
	v_mul_f16_sdwa v37, v37, v8 dst_sel:DWORD dst_unused:UNUSED_PAD src0_sel:DWORD src1_sel:WORD_1
	v_fma_f16 v8, v45, v8, v37
	v_mul_f16_sdwa v37, v36, v9 dst_sel:DWORD dst_unused:UNUSED_PAD src0_sel:DWORD src1_sel:WORD_1
	v_fma_f16 v37, v28, v9, -v37
	v_mul_f16_sdwa v28, v28, v9 dst_sel:DWORD dst_unused:UNUSED_PAD src0_sel:DWORD src1_sel:WORD_1
	v_fma_f16 v9, v36, v9, v28
	;; [unrolled: 4-line block ×4, first 2 shown]
	v_mul_f16_sdwa v21, v50, v16 dst_sel:DWORD dst_unused:UNUSED_PAD src0_sel:DWORD src1_sel:WORD_1
	v_mul_f16_sdwa v32, v42, v16 dst_sel:DWORD dst_unused:UNUSED_PAD src0_sel:DWORD src1_sel:WORD_1
	v_fma_f16 v21, v42, v16, -v21
	v_fma_f16 v16, v50, v16, v32
	v_mul_f16_sdwa v32, v48, v17 dst_sel:DWORD dst_unused:UNUSED_PAD src0_sel:DWORD src1_sel:WORD_1
	v_mul_f16_sdwa v34, v40, v17 dst_sel:DWORD dst_unused:UNUSED_PAD src0_sel:DWORD src1_sel:WORD_1
	v_fma_f16 v32, v40, v17, -v32
	v_fma_f16 v17, v48, v17, v34
	v_mul_f16_sdwa v34, v44, v12 dst_sel:DWORD dst_unused:UNUSED_PAD src0_sel:DWORD src1_sel:WORD_1
	v_fma_f16 v34, v29, v12, -v34
	v_mul_f16_sdwa v29, v29, v12 dst_sel:DWORD dst_unused:UNUSED_PAD src0_sel:DWORD src1_sel:WORD_1
	v_fma_f16 v12, v44, v12, v29
	v_mul_f16_sdwa v29, v35, v13 dst_sel:DWORD dst_unused:UNUSED_PAD src0_sel:DWORD src1_sel:WORD_1
	v_fma_f16 v29, v26, v13, -v29
	v_mul_f16_sdwa v26, v26, v13 dst_sel:DWORD dst_unused:UNUSED_PAD src0_sel:DWORD src1_sel:WORD_1
	;; [unrolled: 4-line block ×3, first 2 shown]
	v_fma_f16 v14, v33, v14, v22
	v_mul_f16_sdwa v22, v51, v15 dst_sel:DWORD dst_unused:UNUSED_PAD src0_sel:DWORD src1_sel:WORD_1
	v_mul_f16_sdwa v33, v43, v15 dst_sel:DWORD dst_unused:UNUSED_PAD src0_sel:DWORD src1_sel:WORD_1
	v_fma_f16 v22, v43, v15, -v22
	v_fma_f16 v15, v51, v15, v33
	v_mul_f16_sdwa v33, v49, v18 dst_sel:DWORD dst_unused:UNUSED_PAD src0_sel:DWORD src1_sel:WORD_1
	v_mul_f16_sdwa v35, v41, v18 dst_sel:DWORD dst_unused:UNUSED_PAD src0_sel:DWORD src1_sel:WORD_1
	v_fma_f16 v33, v41, v18, -v33
	;; [unrolled: 4-line block ×3, first 2 shown]
	v_fma_f16 v19, v47, v19, v36
	v_add_f16_e32 v36, v53, v32
	v_add_f16_e32 v39, v8, v17
	v_sub_f16_e32 v8, v8, v17
	v_add_f16_e32 v17, v37, v21
	v_add_f16_e32 v40, v9, v16
	v_sub_f16_e32 v32, v53, v32
	v_sub_f16_e32 v21, v37, v21
	;; [unrolled: 1-line block ×3, first 2 shown]
	v_add_f16_e32 v16, v28, v25
	v_add_f16_e32 v37, v10, v11
	v_sub_f16_e32 v25, v25, v28
	v_sub_f16_e32 v10, v11, v10
	v_add_f16_e32 v11, v17, v36
	v_add_f16_e32 v28, v40, v39
	v_sub_f16_e32 v41, v17, v36
	v_sub_f16_e32 v42, v40, v39
	;; [unrolled: 1-line block ×6, first 2 shown]
	v_add_f16_e32 v43, v25, v21
	v_add_f16_e32 v44, v10, v9
	v_sub_f16_e32 v45, v25, v21
	v_sub_f16_e32 v47, v10, v9
	;; [unrolled: 1-line block ×4, first 2 shown]
	v_add_f16_e32 v11, v16, v11
	v_add_f16_e32 v16, v37, v28
	v_sub_f16_e32 v25, v32, v25
	v_sub_f16_e32 v10, v8, v10
	v_add_f16_e32 v28, v43, v32
	v_add_f16_e32 v8, v44, v8
	;; [unrolled: 1-line block ×4, first 2 shown]
	v_mul_f16_e32 v32, 0x3a52, v36
	v_mul_f16_e32 v36, 0x3a52, v39
	;; [unrolled: 1-line block ×8, first 2 shown]
	v_fma_f16 v11, v11, s6, v20
	v_fma_f16 v16, v16, s6, v31
	;; [unrolled: 1-line block ×4, first 2 shown]
	v_fma_f16 v37, v41, s1, -v37
	v_fma_f16 v39, v42, s1, -v39
	;; [unrolled: 1-line block ×4, first 2 shown]
	v_fma_f16 v41, v25, s7, v43
	v_fma_f16 v42, v10, s7, v44
	v_fma_f16 v21, v21, s0, -v43
	v_fma_f16 v9, v9, s0, -v44
	;; [unrolled: 1-line block ×4, first 2 shown]
	v_add_f16_e32 v17, v17, v11
	v_add_f16_e32 v40, v40, v16
	;; [unrolled: 1-line block ×6, first 2 shown]
	v_fma_f16 v36, v8, s4, v42
	v_fma_f16 v21, v28, s4, v21
	;; [unrolled: 1-line block ×6, first 2 shown]
	v_add_f16_e32 v10, v36, v17
	v_add_f16_e32 v41, v8, v11
	v_sub_f16_e32 v42, v16, v25
	v_sub_f16_e32 v43, v37, v9
	v_add_f16_e32 v44, v21, v39
	v_add_f16_e32 v9, v9, v37
	v_sub_f16_e32 v37, v39, v21
	v_sub_f16_e32 v8, v11, v8
	v_add_f16_e32 v25, v25, v16
	v_sub_f16_e32 v11, v17, v36
	v_add_f16_e32 v16, v34, v35
	v_add_f16_e32 v17, v12, v19
	v_sub_f16_e32 v21, v34, v35
	v_sub_f16_e32 v12, v12, v19
	v_add_f16_e32 v19, v29, v33
	v_add_f16_e32 v34, v13, v18
	v_sub_f16_e32 v29, v29, v33
	;; [unrolled: 4-line block ×4, first 2 shown]
	v_add_f16_e32 v32, v32, v40
	v_sub_f16_e32 v35, v19, v16
	v_sub_f16_e32 v36, v34, v17
	;; [unrolled: 1-line block ×5, first 2 shown]
	v_add_f16_e32 v39, v22, v29
	v_add_f16_e32 v40, v14, v13
	v_sub_f16_e32 v45, v22, v29
	v_sub_f16_e32 v47, v14, v13
	v_sub_f16_e32 v29, v29, v21
	v_add_f16_e32 v15, v18, v15
	v_add_f16_e32 v18, v33, v26
	v_sub_f16_e32 v34, v33, v34
	v_sub_f16_e32 v22, v21, v22
	;; [unrolled: 1-line block ×4, first 2 shown]
	v_add_f16_e32 v12, v40, v12
	v_add_f16_e32 v26, v38, v15
	;; [unrolled: 1-line block ×3, first 2 shown]
	v_mul_f16_e32 v16, 0x3a52, v16
	v_mul_f16_e32 v17, 0x3a52, v17
	;; [unrolled: 1-line block ×6, first 2 shown]
	v_add_f16_e32 v21, v39, v21
	v_mul_f16_e32 v39, 0x2b26, v34
	v_mul_f16_e32 v47, 0x3b00, v13
	v_fma_f16 v15, v15, s6, v26
	v_fma_f16 v18, v18, s6, v33
	;; [unrolled: 1-line block ×4, first 2 shown]
	v_fma_f16 v38, v35, s1, -v38
	v_fma_f16 v16, v35, s2, -v16
	;; [unrolled: 1-line block ×3, first 2 shown]
	v_fma_f16 v35, v22, s7, v40
	v_fma_f16 v29, v29, s0, -v40
	v_fma_f16 v13, v13, s0, -v45
	v_fma_f16 v22, v22, s3, -v46
	v_fma_f16 v39, v36, s1, -v39
	v_fma_f16 v36, v14, s7, v45
	v_add_f16_e32 v19, v19, v15
	v_add_f16_e32 v34, v34, v18
	;; [unrolled: 1-line block ×5, first 2 shown]
	v_fma_f16 v17, v21, s4, v35
	v_fma_f16 v29, v21, s4, v29
	;; [unrolled: 1-line block ×4, first 2 shown]
	v_add_f16_e32 v39, v39, v18
	v_fma_f16 v18, v12, s4, v36
	v_sub_f16_e32 v22, v34, v17
	v_sub_f16_e32 v36, v16, v21
	;; [unrolled: 1-line block ×3, first 2 shown]
	v_add_f16_e32 v13, v13, v38
	v_add_f16_e32 v38, v21, v16
	v_add_f16_e32 v34, v17, v34
	v_mul_u32_u24_e32 v16, 0x1dc, v23
	v_lshlrev_b32_sdwa v17, v52, v24 dst_sel:DWORD dst_unused:UNUSED_PAD src0_sel:DWORD src1_sel:BYTE_0
	v_fma_f16 v14, v14, s3, -v47
	v_add3_u32 v23, 0, v16, v17
	v_fma_f16 v12, v12, s4, v14
	ds_write_b16 v23, v20
	ds_write_b16 v23, v10 offset:68
	ds_write_b16 v23, v41 offset:136
	;; [unrolled: 1-line block ×6, first 2 shown]
	v_mul_u32_u24_e32 v8, 0x1dc, v27
	v_lshlrev_b32_sdwa v9, v52, v30 dst_sel:DWORD dst_unused:UNUSED_PAD src0_sel:DWORD src1_sel:BYTE_0
	v_add_f16_e32 v14, v18, v19
	v_add_f16_e32 v35, v12, v15
	v_sub_f16_e32 v12, v15, v12
	v_sub_f16_e32 v15, v19, v18
	v_add3_u32 v24, 0, v8, v9
	ds_write_b16 v24, v26
	ds_write_b16 v24, v14 offset:68
	ds_write_b16 v24, v35 offset:136
	;; [unrolled: 1-line block ×6, first 2 shown]
	s_waitcnt lgkmcnt(0)
	s_barrier
	ds_read_u16 v8, v4
	ds_read_u16 v9, v4 offset:1904
	ds_read_u16 v16, v4 offset:1666
	;; [unrolled: 1-line block ×13, first 2 shown]
	v_add_f16_e32 v45, v29, v39
	v_sub_f16_e32 v29, v39, v29
	s_waitcnt lgkmcnt(0)
	s_barrier
	ds_write_b16 v23, v31
	ds_write_b16 v23, v28 offset:68
	ds_write_b16 v23, v42 offset:136
	;; [unrolled: 1-line block ×6, first 2 shown]
	ds_write_b16 v24, v33
	ds_write_b16 v24, v22 offset:68
	ds_write_b16 v24, v36 offset:136
	;; [unrolled: 1-line block ×6, first 2 shown]
	s_waitcnt lgkmcnt(0)
	s_barrier
	s_and_saveexec_b64 s[10:11], vcc
	s_cbranch_execz .LBB0_17
; %bb.16:
	v_mul_u32_u24_e32 v22, 6, v3
	v_lshlrev_b32_e32 v26, 2, v22
	global_load_dwordx4 v[22:25], v26, s[8:9] offset:884
	global_load_dwordx2 v[30:31], v26, s[8:9] offset:900
	v_mul_u32_u24_e32 v26, 6, v2
	v_lshlrev_b32_e32 v47, 2, v26
	ds_read_u16 v34, v4 offset:1666
	ds_read_u16 v35, v4 offset:1428
	ds_read_u16 v36, v4 offset:1190
	ds_read_u16 v37, v4 offset:952
	ds_read_u16 v38, v4 offset:714
	ds_read_u16 v39, v4 offset:476
	ds_read_u16 v40, v4 offset:3094
	ds_read_u16 v41, v4 offset:2856
	ds_read_u16 v42, v4 offset:2618
	ds_read_u16 v43, v4 offset:2380
	ds_read_u16 v44, v4 offset:2142
	ds_read_u16 v45, v4 offset:1904
	ds_read_u16 v46, v4 offset:238
	ds_read_u16 v4, v4
	global_load_dwordx4 v[26:29], v47, s[8:9] offset:884
	global_load_dwordx2 v[32:33], v47, s[8:9] offset:900
	s_waitcnt vmcnt(3) lgkmcnt(3)
	v_mul_f16_sdwa v49, v44, v25 dst_sel:DWORD dst_unused:UNUSED_PAD src0_sel:DWORD src1_sel:WORD_1
	v_mul_f16_sdwa v50, v34, v24 dst_sel:DWORD dst_unused:UNUSED_PAD src0_sel:DWORD src1_sel:WORD_1
	;; [unrolled: 1-line block ×3, first 2 shown]
	s_waitcnt vmcnt(2)
	v_mul_f16_sdwa v52, v42, v30 dst_sel:DWORD dst_unused:UNUSED_PAD src0_sel:DWORD src1_sel:WORD_1
	v_mul_f16_sdwa v47, v38, v22 dst_sel:DWORD dst_unused:UNUSED_PAD src0_sel:DWORD src1_sel:WORD_1
	;; [unrolled: 1-line block ×9, first 2 shown]
	v_fma_f16 v21, v21, v25, -v49
	v_fma_f16 v16, v16, v24, -v50
	;; [unrolled: 1-line block ×6, first 2 shown]
	v_fma_f16 v31, v31, v40, v53
	v_fma_f16 v22, v22, v38, v54
	;; [unrolled: 1-line block ×6, first 2 shown]
	v_sub_f16_e32 v36, v21, v16
	v_sub_f16_e32 v38, v17, v19
	;; [unrolled: 1-line block ×3, first 2 shown]
	v_add_f16_e32 v40, v22, v31
	v_add_f16_e32 v42, v25, v24
	v_add_f16_e32 v44, v23, v30
	v_add_f16_e32 v18, v18, v20
	v_add_f16_e32 v16, v21, v16
	v_add_f16_e32 v17, v17, v19
	v_sub_f16_e32 v19, v22, v31
	v_sub_f16_e32 v20, v25, v24
	v_sub_f16_e32 v21, v23, v30
	v_add_f16_e32 v24, v36, v38
	v_sub_f16_e32 v22, v34, v36
	v_sub_f16_e32 v23, v36, v38
	v_add_f16_e32 v31, v40, v44
	v_add_f16_e32 v48, v18, v17
	v_sub_f16_e32 v49, v19, v20
	v_sub_f16_e32 v50, v20, v21
	v_add_f16_e32 v20, v20, v21
	v_add_f16_e32 v24, v34, v24
	v_sub_f16_e32 v34, v38, v34
	v_sub_f16_e32 v25, v40, v42
	;; [unrolled: 1-line block ×5, first 2 shown]
	v_mul_f16_e32 v23, 0xb846, v23
	v_add_f16_e32 v31, v42, v31
	v_add_f16_e32 v16, v16, v48
	v_add_f16_e32 v20, v19, v20
	v_mul_f16_e32 v38, 0x3b00, v34
	v_sub_f16_e32 v19, v21, v19
	v_mul_f16_e32 v51, 0x3a52, v25
	v_mul_f16_e32 v30, 0x2b26, v30
	;; [unrolled: 1-line block ×5, first 2 shown]
	v_fma_f16 v50, v22, s7, v23
	s_waitcnt lgkmcnt(1)
	v_add_f16_e32 v46, v46, v31
	v_add_f16_e32 v15, v15, v16
	v_fma_f16 v22, v22, s3, -v38
	v_sub_f16_e32 v38, v44, v40
	v_sub_f16_e32 v17, v17, v18
	v_mul_f16_e32 v21, 0x3b00, v19
	v_fma_f16 v25, v25, s5, v30
	v_fma_f16 v36, v36, s5, v47
	;; [unrolled: 1-line block ×4, first 2 shown]
	v_fma_f16 v40, v38, s2, -v51
	v_fma_f16 v18, v17, s2, -v42
	;; [unrolled: 1-line block ×7, first 2 shown]
	v_fma_f16 v52, v49, s7, v48
	v_fma_f16 v50, v24, s4, v50
	v_add_f16_e32 v25, v25, v31
	v_add_f16_e32 v36, v36, v16
	v_fma_f16 v22, v24, s4, v22
	v_add_f16_e32 v40, v40, v31
	v_add_f16_e32 v18, v18, v16
	v_fma_f16 v21, v20, s4, v21
	v_add_f16_e32 v30, v30, v31
	v_fma_f16 v23, v24, s4, v23
	v_fma_f16 v19, v20, s4, v19
	v_add_f16_e32 v16, v17, v16
	v_add_f16_e32 v53, v50, v25
	v_fma_f16 v52, v20, s4, v52
	v_add_f16_e32 v44, v22, v40
	v_sub_f16_e32 v42, v18, v21
	v_sub_f16_e32 v24, v30, v23
	v_add_f16_e32 v17, v19, v16
	v_add_f16_e32 v20, v23, v30
	v_sub_f16_e32 v16, v16, v19
	v_sub_f16_e32 v19, v40, v22
	v_add_f16_e32 v18, v21, v18
	v_sub_f16_e32 v21, v25, v50
	s_waitcnt vmcnt(1)
	v_mul_f16_sdwa v23, v39, v26 dst_sel:DWORD dst_unused:UNUSED_PAD src0_sel:DWORD src1_sel:WORD_1
	s_waitcnt vmcnt(0)
	v_mul_f16_sdwa v25, v41, v33 dst_sel:DWORD dst_unused:UNUSED_PAD src0_sel:DWORD src1_sel:WORD_1
	v_mul_f16_sdwa v31, v45, v29 dst_sel:DWORD dst_unused:UNUSED_PAD src0_sel:DWORD src1_sel:WORD_1
	;; [unrolled: 1-line block ×5, first 2 shown]
	v_fma_f16 v23, v13, v26, -v23
	v_fma_f16 v25, v14, v33, -v25
	;; [unrolled: 1-line block ×6, first 2 shown]
	v_mul_f16_sdwa v14, v14, v33 dst_sel:DWORD dst_unused:UNUSED_PAD src0_sel:DWORD src1_sel:WORD_1
	v_mul_f16_sdwa v13, v13, v26 dst_sel:DWORD dst_unused:UNUSED_PAD src0_sel:DWORD src1_sel:WORD_1
	;; [unrolled: 1-line block ×6, first 2 shown]
	v_fma_f16 v14, v33, v41, v14
	v_fma_f16 v13, v26, v39, v13
	;; [unrolled: 1-line block ×6, first 2 shown]
	v_sub_f16_e32 v30, v23, v25
	v_add_f16_e32 v26, v13, v14
	v_add_f16_e32 v28, v9, v11
	;; [unrolled: 1-line block ×5, first 2 shown]
	v_sub_f16_e32 v13, v13, v14
	v_sub_f16_e32 v9, v9, v11
	;; [unrolled: 1-line block ×4, first 2 shown]
	v_add_f16_e32 v35, v26, v27
	v_add_f16_e32 v25, v31, v34
	;; [unrolled: 1-line block ×3, first 2 shown]
	v_sub_f16_e32 v11, v13, v9
	v_sub_f16_e32 v12, v9, v10
	v_add_f16_e32 v9, v9, v10
	v_sub_f16_e32 v10, v10, v13
	v_sub_f16_e32 v54, v36, v52
	v_add_f16_e32 v22, v52, v36
	v_sub_f16_e32 v36, v31, v34
	v_sub_f16_e32 v29, v26, v28
	;; [unrolled: 1-line block ×3, first 2 shown]
	v_add_f16_e32 v28, v28, v35
	v_sub_f16_e32 v31, v23, v25
	v_sub_f16_e32 v39, v25, v37
	v_add_f16_e32 v25, v25, v40
	v_mul_f16_e32 v12, 0xb846, v12
	v_add_f16_e32 v9, v13, v9
	v_mul_f16_e32 v13, 0x3b00, v10
	v_sub_f16_e32 v38, v30, v36
	v_sub_f16_e32 v49, v36, v48
	v_add_f16_e32 v36, v36, v48
	v_mul_f16_e32 v33, 0x3a52, v29
	v_mul_f16_e32 v32, 0x2b26, v32
	s_waitcnt lgkmcnt(0)
	v_add_f16_e32 v35, v4, v28
	v_mul_f16_e32 v34, 0x3a52, v31
	v_mul_f16_e32 v39, 0x2b26, v39
	v_add_f16_e32 v40, v8, v25
	v_fma_f16 v14, v11, s7, v12
	v_sub_f16_e32 v26, v27, v26
	v_sub_f16_e32 v23, v37, v23
	v_fma_f16 v11, v11, s3, -v13
	v_fma_f16 v10, v10, s0, -v12
	v_mul_f16_e32 v49, 0xb846, v49
	v_add_f16_e32 v36, v30, v36
	v_fma_f16 v29, v29, s5, v32
	v_fma_f16 v4, v28, s6, v35
	;; [unrolled: 1-line block ×5, first 2 shown]
	v_sub_f16_e32 v30, v48, v30
	v_fma_f16 v27, v26, s2, -v33
	v_fma_f16 v34, v23, s2, -v34
	v_fma_f16 v11, v9, s4, v11
	v_fma_f16 v26, v26, s1, -v32
	v_fma_f16 v10, v9, s4, v10
	v_fma_f16 v9, v23, s1, -v39
	v_add_f16_e32 v28, v29, v4
	v_add_f16_e32 v25, v31, v8
	;; [unrolled: 1-line block ×5, first 2 shown]
	v_fma_f16 v26, v30, s0, -v49
	v_add_f16_e32 v12, v9, v8
	v_mad_u64_u32 v[8:9], s[0:1], s12, v2, 0
	v_fma_f16 v26, v36, s4, v26
	v_mul_f16_e32 v41, 0x3b00, v30
	v_sub_f16_e32 v30, v4, v26
	v_add_f16_e32 v26, v26, v4
	v_mov_b32_e32 v4, v9
	v_add_f16_e32 v23, v10, v12
	v_sub_f16_e32 v12, v12, v10
	v_mad_u64_u32 v[9:10], s[0:1], s13, v2, v[4:5]
	v_sub_f16_e32 v13, v34, v11
	v_add_f16_e32 v32, v11, v34
	v_mad_u64_u32 v[10:11], s[0:1], s12, v6, 0
	v_sub_f16_e32 v31, v25, v14
	v_add_f16_e32 v14, v14, v25
	v_mov_b32_e32 v4, s15
	v_add_co_u32_e32 v25, vcc, s14, v0
	v_addc_co_u32_e32 v34, vcc, v4, v1, vcc
	v_mov_b32_e32 v4, v11
	v_lshlrev_b64 v[0:1], 2, v[8:9]
	v_mad_u64_u32 v[8:9], s[0:1], s13, v6, v[4:5]
	v_add_co_u32_e32 v0, vcc, v25, v0
	v_mov_b32_e32 v11, v8
	v_mad_u64_u32 v[8:9], s[0:1], s12, v5, 0
	v_addc_co_u32_e32 v1, vcc, v34, v1, vcc
	v_pack_b32_f16 v4, v40, v35
	global_store_dword v[0:1], v4, off
	v_mov_b32_e32 v4, v9
	v_mad_u64_u32 v[4:5], s[0:1], s13, v5, v[4:5]
	v_mad_u64_u32 v[5:6], s[0:1], s12, v7, 0
	v_fma_f16 v50, v38, s7, v49
	v_lshlrev_b64 v[0:1], 2, v[10:11]
	v_fma_f16 v50, v36, s4, v50
	v_add_f16_e32 v29, v50, v28
	v_sub_f16_e32 v28, v28, v50
	v_add_co_u32_e32 v0, vcc, v25, v0
	v_addc_co_u32_e32 v1, vcc, v34, v1, vcc
	v_pack_b32_f16 v10, v14, v28
	v_mov_b32_e32 v9, v4
	v_mov_b32_e32 v4, v6
	v_fma_f16 v38, v38, s3, -v41
	global_store_dword v[0:1], v10, off
	v_lshlrev_b64 v[0:1], 2, v[8:9]
	v_mad_u64_u32 v[6:7], s[0:1], s13, v7, v[4:5]
	v_fma_f16 v38, v36, s4, v38
	v_add_f16_e32 v33, v38, v27
	v_sub_f16_e32 v27, v27, v38
	v_add_co_u32_e32 v0, vcc, v25, v0
	v_addc_co_u32_e32 v1, vcc, v34, v1, vcc
	v_pack_b32_f16 v4, v32, v27
	global_store_dword v[0:1], v4, off
	v_lshlrev_b64 v[0:1], 2, v[5:6]
	v_add_u32_e32 v6, 0x3b8, v2
	v_mad_u64_u32 v[4:5], s[0:1], s12, v6, 0
	v_add_u32_e32 v9, 0x4a6, v2
	v_add_co_u32_e32 v0, vcc, v25, v0
	v_mad_u64_u32 v[5:6], s[0:1], s13, v6, v[5:6]
	v_mad_u64_u32 v[6:7], s[0:1], s12, v9, 0
	v_addc_co_u32_e32 v1, vcc, v34, v1, vcc
	v_pack_b32_f16 v8, v12, v26
	global_store_dword v[0:1], v8, off
	v_lshlrev_b64 v[0:1], 2, v[4:5]
	v_mov_b32_e32 v4, v7
	v_mad_u64_u32 v[4:5], s[0:1], s13, v9, v[4:5]
	v_add_co_u32_e32 v0, vcc, v25, v0
	v_addc_co_u32_e32 v1, vcc, v34, v1, vcc
	v_pack_b32_f16 v5, v23, v30
	v_mov_b32_e32 v7, v4
	global_store_dword v[0:1], v5, off
	v_lshlrev_b64 v[0:1], 2, v[6:7]
	v_add_u32_e32 v6, 0x594, v2
	v_mad_u64_u32 v[4:5], s[0:1], s12, v6, 0
	s_mov_b32 s0, 0x44d72045
	v_mul_hi_u32 v8, v3, s0
	v_mov_b32_e32 v2, v5
	s_movk_i32 s2, 0x594
	v_mad_u64_u32 v[5:6], s[0:1], s13, v6, v[2:3]
	v_lshrrev_b32_e32 v2, 6, v8
	v_mad_u32_u24 v6, v2, s2, v3
	v_mad_u64_u32 v[2:3], s[0:1], s12, v6, 0
	v_add_co_u32_e32 v0, vcc, v25, v0
	v_addc_co_u32_e32 v1, vcc, v34, v1, vcc
	v_pack_b32_f16 v7, v13, v33
	global_store_dword v[0:1], v7, off
	v_lshlrev_b64 v[0:1], 2, v[4:5]
	v_mad_u64_u32 v[3:4], s[0:1], s13, v6, v[3:4]
	v_add_co_u32_e32 v0, vcc, v25, v0
	v_addc_co_u32_e32 v1, vcc, v34, v1, vcc
	v_pack_b32_f16 v4, v31, v29
	global_store_dword v[0:1], v4, off
	v_add_u32_e32 v4, 0xee, v6
	v_lshlrev_b64 v[0:1], 2, v[2:3]
	v_mad_u64_u32 v[2:3], s[0:1], s12, v4, 0
	v_add_u32_e32 v8, 0x1dc, v6
	v_add_co_u32_e32 v0, vcc, v25, v0
	v_mad_u64_u32 v[3:4], s[0:1], s13, v4, v[3:4]
	v_mad_u64_u32 v[4:5], s[0:1], s12, v8, 0
	v_addc_co_u32_e32 v1, vcc, v34, v1, vcc
	v_pack_b32_f16 v7, v15, v46
	global_store_dword v[0:1], v7, off
	v_lshlrev_b64 v[0:1], 2, v[2:3]
	v_mov_b32_e32 v2, v5
	v_mad_u64_u32 v[2:3], s[0:1], s13, v8, v[2:3]
	v_add_co_u32_e32 v0, vcc, v25, v0
	v_addc_co_u32_e32 v1, vcc, v34, v1, vcc
	v_pack_b32_f16 v3, v22, v21
	v_mov_b32_e32 v5, v2
	global_store_dword v[0:1], v3, off
	v_lshlrev_b64 v[0:1], 2, v[4:5]
	v_add_u32_e32 v4, 0x2ca, v6
	v_mad_u64_u32 v[2:3], s[0:1], s12, v4, 0
	v_add_u32_e32 v8, 0x3b8, v6
	v_add_co_u32_e32 v0, vcc, v25, v0
	v_mad_u64_u32 v[3:4], s[0:1], s13, v4, v[3:4]
	v_mad_u64_u32 v[4:5], s[0:1], s12, v8, 0
	v_addc_co_u32_e32 v1, vcc, v34, v1, vcc
	v_pack_b32_f16 v7, v18, v19
	global_store_dword v[0:1], v7, off
	v_lshlrev_b64 v[0:1], 2, v[2:3]
	v_mov_b32_e32 v2, v5
	v_mad_u64_u32 v[2:3], s[0:1], s13, v8, v[2:3]
	v_add_co_u32_e32 v0, vcc, v25, v0
	v_addc_co_u32_e32 v1, vcc, v34, v1, vcc
	v_pack_b32_f16 v3, v16, v20
	v_mov_b32_e32 v5, v2
	global_store_dword v[0:1], v3, off
	v_lshlrev_b64 v[0:1], 2, v[4:5]
	v_add_u32_e32 v4, 0x4a6, v6
	v_mad_u64_u32 v[2:3], s[0:1], s12, v4, 0
	v_add_u32_e32 v6, 0x594, v6
	v_add_co_u32_e32 v0, vcc, v25, v0
	v_mad_u64_u32 v[3:4], s[0:1], s13, v4, v[3:4]
	v_mad_u64_u32 v[4:5], s[0:1], s12, v6, 0
	v_addc_co_u32_e32 v1, vcc, v34, v1, vcc
	v_pack_b32_f16 v7, v17, v24
	global_store_dword v[0:1], v7, off
	v_lshlrev_b64 v[0:1], 2, v[2:3]
	v_mov_b32_e32 v2, v5
	v_mad_u64_u32 v[2:3], s[0:1], s13, v6, v[2:3]
	v_add_co_u32_e32 v0, vcc, v25, v0
	v_addc_co_u32_e32 v1, vcc, v34, v1, vcc
	v_pack_b32_f16 v3, v42, v44
	v_mov_b32_e32 v5, v2
	global_store_dword v[0:1], v3, off
	v_lshlrev_b64 v[0:1], 2, v[4:5]
	v_pack_b32_f16 v2, v54, v53
	v_add_co_u32_e32 v0, vcc, v25, v0
	v_addc_co_u32_e32 v1, vcc, v34, v1, vcc
	global_store_dword v[0:1], v2, off
.LBB0_17:
	s_endpgm
	.section	.rodata,"a",@progbits
	.p2align	6, 0x0
	.amdhsa_kernel fft_rtc_fwd_len1666_factors_17_2_7_7_wgs_119_tpt_119_halfLds_half_ip_CI_sbrr_dirReg
		.amdhsa_group_segment_fixed_size 0
		.amdhsa_private_segment_fixed_size 0
		.amdhsa_kernarg_size 88
		.amdhsa_user_sgpr_count 6
		.amdhsa_user_sgpr_private_segment_buffer 1
		.amdhsa_user_sgpr_dispatch_ptr 0
		.amdhsa_user_sgpr_queue_ptr 0
		.amdhsa_user_sgpr_kernarg_segment_ptr 1
		.amdhsa_user_sgpr_dispatch_id 0
		.amdhsa_user_sgpr_flat_scratch_init 0
		.amdhsa_user_sgpr_private_segment_size 0
		.amdhsa_uses_dynamic_stack 0
		.amdhsa_system_sgpr_private_segment_wavefront_offset 0
		.amdhsa_system_sgpr_workgroup_id_x 1
		.amdhsa_system_sgpr_workgroup_id_y 0
		.amdhsa_system_sgpr_workgroup_id_z 0
		.amdhsa_system_sgpr_workgroup_info 0
		.amdhsa_system_vgpr_workitem_id 0
		.amdhsa_next_free_vgpr 82
		.amdhsa_next_free_sgpr 43
		.amdhsa_reserve_vcc 1
		.amdhsa_reserve_flat_scratch 0
		.amdhsa_float_round_mode_32 0
		.amdhsa_float_round_mode_16_64 0
		.amdhsa_float_denorm_mode_32 3
		.amdhsa_float_denorm_mode_16_64 3
		.amdhsa_dx10_clamp 1
		.amdhsa_ieee_mode 1
		.amdhsa_fp16_overflow 0
		.amdhsa_exception_fp_ieee_invalid_op 0
		.amdhsa_exception_fp_denorm_src 0
		.amdhsa_exception_fp_ieee_div_zero 0
		.amdhsa_exception_fp_ieee_overflow 0
		.amdhsa_exception_fp_ieee_underflow 0
		.amdhsa_exception_fp_ieee_inexact 0
		.amdhsa_exception_int_div_zero 0
	.end_amdhsa_kernel
	.text
.Lfunc_end0:
	.size	fft_rtc_fwd_len1666_factors_17_2_7_7_wgs_119_tpt_119_halfLds_half_ip_CI_sbrr_dirReg, .Lfunc_end0-fft_rtc_fwd_len1666_factors_17_2_7_7_wgs_119_tpt_119_halfLds_half_ip_CI_sbrr_dirReg
                                        ; -- End function
	.section	.AMDGPU.csdata,"",@progbits
; Kernel info:
; codeLenInByte = 12008
; NumSgprs: 47
; NumVgprs: 82
; ScratchSize: 0
; MemoryBound: 0
; FloatMode: 240
; IeeeMode: 1
; LDSByteSize: 0 bytes/workgroup (compile time only)
; SGPRBlocks: 5
; VGPRBlocks: 20
; NumSGPRsForWavesPerEU: 47
; NumVGPRsForWavesPerEU: 82
; Occupancy: 3
; WaveLimiterHint : 1
; COMPUTE_PGM_RSRC2:SCRATCH_EN: 0
; COMPUTE_PGM_RSRC2:USER_SGPR: 6
; COMPUTE_PGM_RSRC2:TRAP_HANDLER: 0
; COMPUTE_PGM_RSRC2:TGID_X_EN: 1
; COMPUTE_PGM_RSRC2:TGID_Y_EN: 0
; COMPUTE_PGM_RSRC2:TGID_Z_EN: 0
; COMPUTE_PGM_RSRC2:TIDIG_COMP_CNT: 0
	.type	__hip_cuid_6d76f3a100c00359,@object ; @__hip_cuid_6d76f3a100c00359
	.section	.bss,"aw",@nobits
	.globl	__hip_cuid_6d76f3a100c00359
__hip_cuid_6d76f3a100c00359:
	.byte	0                               ; 0x0
	.size	__hip_cuid_6d76f3a100c00359, 1

	.ident	"AMD clang version 19.0.0git (https://github.com/RadeonOpenCompute/llvm-project roc-6.4.0 25133 c7fe45cf4b819c5991fe208aaa96edf142730f1d)"
	.section	".note.GNU-stack","",@progbits
	.addrsig
	.addrsig_sym __hip_cuid_6d76f3a100c00359
	.amdgpu_metadata
---
amdhsa.kernels:
  - .args:
      - .actual_access:  read_only
        .address_space:  global
        .offset:         0
        .size:           8
        .value_kind:     global_buffer
      - .offset:         8
        .size:           8
        .value_kind:     by_value
      - .actual_access:  read_only
        .address_space:  global
        .offset:         16
        .size:           8
        .value_kind:     global_buffer
      - .actual_access:  read_only
        .address_space:  global
        .offset:         24
        .size:           8
        .value_kind:     global_buffer
      - .offset:         32
        .size:           8
        .value_kind:     by_value
      - .actual_access:  read_only
        .address_space:  global
        .offset:         40
        .size:           8
        .value_kind:     global_buffer
      - .actual_access:  read_only
        .address_space:  global
        .offset:         48
        .size:           8
        .value_kind:     global_buffer
      - .offset:         56
        .size:           4
        .value_kind:     by_value
      - .actual_access:  read_only
        .address_space:  global
        .offset:         64
        .size:           8
        .value_kind:     global_buffer
      - .actual_access:  read_only
        .address_space:  global
        .offset:         72
        .size:           8
        .value_kind:     global_buffer
      - .address_space:  global
        .offset:         80
        .size:           8
        .value_kind:     global_buffer
    .group_segment_fixed_size: 0
    .kernarg_segment_align: 8
    .kernarg_segment_size: 88
    .language:       OpenCL C
    .language_version:
      - 2
      - 0
    .max_flat_workgroup_size: 119
    .name:           fft_rtc_fwd_len1666_factors_17_2_7_7_wgs_119_tpt_119_halfLds_half_ip_CI_sbrr_dirReg
    .private_segment_fixed_size: 0
    .sgpr_count:     47
    .sgpr_spill_count: 0
    .symbol:         fft_rtc_fwd_len1666_factors_17_2_7_7_wgs_119_tpt_119_halfLds_half_ip_CI_sbrr_dirReg.kd
    .uniform_work_group_size: 1
    .uses_dynamic_stack: false
    .vgpr_count:     82
    .vgpr_spill_count: 0
    .wavefront_size: 64
amdhsa.target:   amdgcn-amd-amdhsa--gfx906
amdhsa.version:
  - 1
  - 2
...

	.end_amdgpu_metadata
